;; amdgpu-corpus repo=ROCm/rocFFT kind=compiled arch=gfx1201 opt=O3
	.text
	.amdgcn_target "amdgcn-amd-amdhsa--gfx1201"
	.amdhsa_code_object_version 6
	.protected	bluestein_single_fwd_len1530_dim1_dp_op_CI_CI ; -- Begin function bluestein_single_fwd_len1530_dim1_dp_op_CI_CI
	.globl	bluestein_single_fwd_len1530_dim1_dp_op_CI_CI
	.p2align	8
	.type	bluestein_single_fwd_len1530_dim1_dp_op_CI_CI,@function
bluestein_single_fwd_len1530_dim1_dp_op_CI_CI: ; @bluestein_single_fwd_len1530_dim1_dp_op_CI_CI
; %bb.0:
	s_load_b128 s[8:11], s[0:1], 0x28
	v_mul_u32_u24_e32 v1, 0x283, v0
	s_mov_b32 s2, exec_lo
	v_mov_b32_e32 v246, 0
	s_delay_alu instid0(VALU_DEP_2) | instskip(NEXT) | instid1(VALU_DEP_1)
	v_lshrrev_b32_e32 v1, 16, v1
	v_add_nc_u32_e32 v245, ttmp9, v1
	s_wait_kmcnt 0x0
	s_delay_alu instid0(VALU_DEP_1)
	v_cmpx_gt_u64_e64 s[8:9], v[245:246]
	s_cbranch_execz .LBB0_23
; %bb.1:
	s_clause 0x1
	s_load_b64 s[8:9], s[0:1], 0x0
	s_load_b64 s[12:13], s[0:1], 0x38
	v_mul_lo_u16 v1, 0x66, v1
	s_delay_alu instid0(VALU_DEP_1) | instskip(NEXT) | instid1(VALU_DEP_1)
	v_sub_nc_u16 v0, v0, v1
	v_and_b32_e32 v246, 0xffff, v0
	v_cmp_gt_u16_e32 vcc_lo, 0x5a, v0
	s_delay_alu instid0(VALU_DEP_2)
	v_lshlrev_b32_e32 v255, 4, v246
	s_and_saveexec_b32 s3, vcc_lo
	s_cbranch_execz .LBB0_3
; %bb.2:
	s_load_b64 s[4:5], s[0:1], 0x18
	s_wait_kmcnt 0x0
	s_load_b128 s[4:7], s[4:5], 0x0
	s_wait_kmcnt 0x0
	v_mad_co_u64_u32 v[16:17], null, s6, v245, 0
	v_mad_co_u64_u32 v[32:33], null, s4, v246, 0
	s_delay_alu instid0(VALU_DEP_1) | instskip(NEXT) | instid1(VALU_DEP_1)
	v_dual_mov_b32 v0, v17 :: v_dual_mov_b32 v1, v33
	v_mad_co_u64_u32 v[2:3], null, s7, v245, v[0:1]
	s_delay_alu instid0(VALU_DEP_1)
	v_mad_co_u64_u32 v[18:19], null, s5, v246, v[1:2]
	v_mov_b32_e32 v17, v2
	s_mul_u64 s[4:5], s[4:5], 0x5a0
	s_clause 0x3
	global_load_b128 v[0:3], v255, s[8:9]
	global_load_b128 v[4:7], v255, s[8:9] offset:1440
	global_load_b128 v[8:11], v255, s[8:9] offset:2880
	;; [unrolled: 1-line block ×3, first 2 shown]
	v_lshlrev_b64_e32 v[34:35], 4, v[16:17]
	v_mov_b32_e32 v33, v18
	s_clause 0x3
	global_load_b128 v[16:19], v255, s[8:9] offset:5760
	global_load_b128 v[20:23], v255, s[8:9] offset:7200
	;; [unrolled: 1-line block ×4, first 2 shown]
	v_add_co_u32 v42, s2, s10, v34
	v_lshlrev_b64_e32 v[40:41], 4, v[32:33]
	v_add_co_ci_u32_e64 v43, s2, s11, v35, s2
	s_clause 0x1
	global_load_b128 v[32:35], v255, s[8:9] offset:11520
	global_load_b128 v[36:39], v255, s[8:9] offset:12960
	v_add_co_u32 v56, s2, v42, v40
	s_wait_alu 0xf1ff
	v_add_co_ci_u32_e64 v57, s2, v43, v41, s2
	s_clause 0x1
	global_load_b128 v[40:43], v255, s[8:9] offset:14400
	global_load_b128 v[44:47], v255, s[8:9] offset:15840
	s_wait_alu 0xfffe
	v_add_co_u32 v60, s2, v56, s4
	s_wait_alu 0xf1ff
	v_add_co_ci_u32_e64 v61, s2, s5, v57, s2
	s_clause 0x1
	global_load_b128 v[48:51], v255, s[8:9] offset:17280
	global_load_b128 v[52:55], v255, s[8:9] offset:18720
	v_add_co_u32 v64, s2, v60, s4
	s_wait_alu 0xf1ff
	v_add_co_ci_u32_e64 v65, s2, s5, v61, s2
	s_clause 0x1
	global_load_b128 v[56:59], v[56:57], off
	global_load_b128 v[60:63], v[60:61], off
	v_add_co_u32 v68, s2, v64, s4
	s_wait_alu 0xf1ff
	v_add_co_ci_u32_e64 v69, s2, s5, v65, s2
	s_delay_alu instid0(VALU_DEP_2) | instskip(SKIP_1) | instid1(VALU_DEP_2)
	v_add_co_u32 v72, s2, v68, s4
	s_wait_alu 0xf1ff
	v_add_co_ci_u32_e64 v73, s2, s5, v69, s2
	s_clause 0x1
	global_load_b128 v[64:67], v[64:65], off
	global_load_b128 v[68:71], v[68:69], off
	v_add_co_u32 v76, s2, v72, s4
	s_wait_alu 0xf1ff
	v_add_co_ci_u32_e64 v77, s2, s5, v73, s2
	global_load_b128 v[72:75], v[72:73], off
	v_add_co_u32 v80, s2, v76, s4
	s_wait_alu 0xf1ff
	v_add_co_ci_u32_e64 v81, s2, s5, v77, s2
	;; [unrolled: 4-line block ×12, first 2 shown]
	s_clause 0x1
	global_load_b128 v[116:119], v255, s[8:9] offset:20160
	global_load_b128 v[120:123], v255, s[8:9] offset:21600
	global_load_b128 v[124:127], v[124:125], off
	global_load_b128 v[128:131], v255, s[8:9] offset:23040
	global_load_b128 v[132:135], v[132:133], off
	s_wait_loadcnt 0x13
	v_mul_f64_e32 v[136:137], v[58:59], v[2:3]
	v_mul_f64_e32 v[2:3], v[56:57], v[2:3]
	s_wait_loadcnt 0x12
	v_mul_f64_e32 v[138:139], v[62:63], v[6:7]
	v_mul_f64_e32 v[6:7], v[60:61], v[6:7]
	;; [unrolled: 3-line block ×14, first 2 shown]
	v_fma_f64 v[54:55], v[56:57], v[0:1], v[136:137]
	v_fma_f64 v[56:57], v[58:59], v[0:1], -v[2:3]
	v_fma_f64 v[0:1], v[60:61], v[4:5], v[138:139]
	v_fma_f64 v[2:3], v[62:63], v[4:5], -v[6:7]
	s_wait_loadcnt 0x4
	v_mul_f64_e32 v[166:167], v[114:115], v[118:119]
	v_mul_f64_e32 v[118:119], v[112:113], v[118:119]
	s_wait_loadcnt 0x2
	v_mul_f64_e32 v[168:169], v[126:127], v[122:123]
	v_mul_f64_e32 v[122:123], v[124:125], v[122:123]
	;; [unrolled: 3-line block ×3, first 2 shown]
	v_fma_f64 v[4:5], v[64:65], v[8:9], v[140:141]
	v_fma_f64 v[6:7], v[66:67], v[8:9], -v[10:11]
	v_fma_f64 v[8:9], v[68:69], v[12:13], v[142:143]
	v_fma_f64 v[10:11], v[70:71], v[12:13], -v[14:15]
	;; [unrolled: 2-line block ×15, first 2 shown]
	ds_store_b128 v255, v[54:57]
	ds_store_b128 v255, v[0:3] offset:1440
	ds_store_b128 v255, v[4:7] offset:2880
	;; [unrolled: 1-line block ×16, first 2 shown]
.LBB0_3:
	s_or_b32 exec_lo, exec_lo, s3
	s_clause 0x1
	s_load_b64 s[4:5], s[0:1], 0x20
	s_load_b64 s[2:3], s[0:1], 0x8
	global_wb scope:SCOPE_SE
	s_wait_dscnt 0x0
	s_wait_kmcnt 0x0
	s_barrier_signal -1
	s_barrier_wait -1
	global_inv scope:SCOPE_SE
                                        ; implicit-def: $vgpr0_vgpr1
                                        ; implicit-def: $vgpr20_vgpr21
                                        ; implicit-def: $vgpr28_vgpr29
                                        ; implicit-def: $vgpr32_vgpr33
                                        ; implicit-def: $vgpr36_vgpr37
                                        ; implicit-def: $vgpr44_vgpr45
                                        ; implicit-def: $vgpr48_vgpr49
                                        ; implicit-def: $vgpr56_vgpr57
                                        ; implicit-def: $vgpr60_vgpr61
                                        ; implicit-def: $vgpr64_vgpr65
                                        ; implicit-def: $vgpr52_vgpr53
                                        ; implicit-def: $vgpr40_vgpr41
                                        ; implicit-def: $vgpr24_vgpr25
                                        ; implicit-def: $vgpr16_vgpr17
                                        ; implicit-def: $vgpr12_vgpr13
                                        ; implicit-def: $vgpr8_vgpr9
                                        ; implicit-def: $vgpr4_vgpr5
	s_and_saveexec_b32 s0, vcc_lo
	s_cbranch_execz .LBB0_5
; %bb.4:
	ds_load_b128 v[0:3], v255
	ds_load_b128 v[20:23], v255 offset:1440
	ds_load_b128 v[28:31], v255 offset:2880
	;; [unrolled: 1-line block ×16, first 2 shown]
.LBB0_5:
	s_wait_alu 0xfffe
	s_or_b32 exec_lo, exec_lo, s0
	s_wait_dscnt 0x0
	v_add_f64_e64 v[162:163], v[22:23], -v[6:7]
	v_add_f64_e64 v[168:169], v[20:21], -v[4:5]
	s_mov_b32 s0, 0x5d8e7cdc
	s_mov_b32 s10, 0x2a9d6da3
	s_mov_b32 s1, 0xbfd71e95
	s_mov_b32 s11, 0xbfe58eea
	v_add_f64_e32 v[160:161], v[20:21], v[4:5]
	v_add_f64_e32 v[166:167], v[22:23], v[6:7]
	v_add_f64_e64 v[82:83], v[30:31], -v[10:11]
	v_add_f64_e64 v[68:69], v[28:29], -v[8:9]
	s_mov_b32 s6, 0x370991
	s_mov_b32 s14, 0x75d4884
	s_mov_b32 s20, 0xeb564b22
	s_mov_b32 s7, 0x3fedd6d0
	s_mov_b32 s15, 0x3fe7a5f6
	s_mov_b32 s21, 0xbfefdd0d
	v_add_f64_e32 v[70:71], v[28:29], v[8:9]
	v_add_f64_e32 v[86:87], v[30:31], v[10:11]
	v_add_f64_e64 v[88:89], v[34:35], -v[14:15]
	v_add_f64_e64 v[72:73], v[32:33], -v[12:13]
	s_mov_b32 s16, 0x3259b75e
	s_mov_b32 s26, 0x7c9e640b
	;; [unrolled: 10-line block ×3, first 2 shown]
	s_mov_b32 s24, 0xacd6c6b4
	s_mov_b32 s29, 0x3fdc86fa
	;; [unrolled: 1-line block ×4, first 2 shown]
	v_add_f64_e32 v[110:111], v[38:39], v[18:19]
	v_add_f64_e64 v[114:115], v[46:47], -v[26:27]
	s_wait_alu 0xfffe
	v_mul_f64_e32 v[176:177], s[0:1], v[162:163]
	v_mul_f64_e32 v[184:185], s[0:1], v[168:169]
	;; [unrolled: 1-line block ×4, first 2 shown]
	s_mov_b32 s30, 0x7faef3
	s_mov_b32 s34, 0x923c349f
	;; [unrolled: 1-line block ×4, first 2 shown]
	v_mul_f64_e32 v[136:137], s[10:11], v[82:83]
	v_mul_f64_e32 v[138:139], s[10:11], v[68:69]
	;; [unrolled: 1-line block ×4, first 2 shown]
	s_mov_b32 s35, 0xbfeec746
	s_mov_b32 s37, 0x3fe0d888
	v_add_f64_e32 v[118:119], v[46:47], v[26:27]
	v_add_f64_e64 v[120:121], v[50:51], -v[42:43]
	s_mov_b32 s40, 0xc61f0d01
	s_mov_b32 s38, 0x910ea3b9
	v_mul_f64_e32 v[144:145], s[26:27], v[88:89]
	v_mul_f64_e32 v[148:149], s[26:27], v[72:73]
	;; [unrolled: 1-line block ×4, first 2 shown]
	s_mov_b32 s41, 0xbfd183b1
	s_mov_b32 s39, 0xbfeb34fa
	;; [unrolled: 1-line block ×4, first 2 shown]
	v_add_f64_e64 v[124:125], v[58:59], -v[54:55]
	s_mov_b32 s47, 0xbfe0d888
	v_mul_f64_e32 v[158:159], s[20:21], v[76:77]
	v_mul_f64_e32 v[152:153], s[20:21], v[98:99]
	;; [unrolled: 1-line block ×4, first 2 shown]
	s_mov_b32 s43, 0x3feca52d
	s_mov_b32 s46, s36
	;; [unrolled: 1-line block ×5, first 2 shown]
	v_mul_f64_e32 v[172:173], s[34:35], v[114:115]
	v_fma_f64 v[78:79], v[160:161], s[6:7], v[176:177]
	v_fma_f64 v[80:81], v[166:167], s[6:7], -v[184:185]
	v_fma_f64 v[84:85], v[160:161], s[14:15], v[186:187]
	v_fma_f64 v[90:91], v[166:167], s[14:15], -v[192:193]
	v_mul_f64_e32 v[154:155], s[36:37], v[114:115]
	global_wb scope:SCOPE_SE
	s_barrier_signal -1
	s_barrier_wait -1
	v_fma_f64 v[94:95], v[70:71], s[14:15], v[136:137]
	v_fma_f64 v[96:97], v[86:87], s[14:15], -v[138:139]
	v_fma_f64 v[100:101], v[70:71], s[16:17], v[126:127]
	v_fma_f64 v[102:103], v[86:87], s[16:17], -v[130:131]
	global_inv scope:SCOPE_SE
	v_mul_f64_e32 v[182:183], s[18:19], v[120:121]
	v_mul_f64_e32 v[164:165], s[48:49], v[120:121]
	v_fma_f64 v[108:109], v[74:75], s[28:29], v[144:145]
	v_fma_f64 v[112:113], v[92:93], s[28:29], -v[148:149]
	v_fma_f64 v[116:117], v[74:75], s[22:23], v[140:141]
	v_fma_f64 v[122:123], v[92:93], s[22:23], -v[142:143]
	v_mul_f64_e32 v[196:197], s[46:47], v[124:125]
	v_mul_f64_e32 v[178:179], s[42:43], v[124:125]
	v_fma_f64 v[132:133], v[110:111], s[30:31], -v[150:151]
	v_add_f64_e32 v[104:105], v[0:1], v[78:79]
	v_add_f64_e32 v[106:107], v[2:3], v[80:81]
	v_add_f64_e32 v[84:85], v[0:1], v[84:85]
	v_add_f64_e32 v[90:91], v[2:3], v[90:91]
	v_add_f64_e32 v[78:79], v[36:37], v[16:17]
	v_add_f64_e64 v[80:81], v[44:45], -v[24:25]
	v_add_f64_e32 v[94:95], v[94:95], v[104:105]
	v_add_f64_e32 v[96:97], v[96:97], v[106:107]
	;; [unrolled: 1-line block ×5, first 2 shown]
	v_add_f64_e64 v[90:91], v[48:49], -v[40:41]
	v_mul_f64_e32 v[174:175], s[34:35], v[80:81]
	v_mul_f64_e32 v[156:157], s[36:37], v[80:81]
	v_fma_f64 v[104:105], v[78:79], s[16:17], v[152:153]
	v_fma_f64 v[106:107], v[110:111], s[16:17], -v[158:159]
	v_fma_f64 v[128:129], v[78:79], s[30:31], v[146:147]
	v_add_f64_e32 v[108:109], v[108:109], v[94:95]
	v_add_f64_e32 v[112:113], v[112:113], v[96:97]
	;; [unrolled: 1-line block ×6, first 2 shown]
	v_add_f64_e64 v[96:97], v[56:57], -v[52:53]
	v_mul_f64_e32 v[188:189], s[18:19], v[90:91]
	v_mul_f64_e32 v[170:171], s[48:49], v[90:91]
	v_fma_f64 v[116:117], v[84:85], s[40:41], v[172:173]
	v_fma_f64 v[134:135], v[118:119], s[40:41], -v[174:175]
	v_fma_f64 v[190:191], v[84:85], s[38:39], v[154:155]
	v_fma_f64 v[194:195], v[118:119], s[38:39], -v[156:157]
	v_add_f64_e32 v[104:105], v[104:105], v[108:109]
	v_add_f64_e32 v[106:107], v[106:107], v[112:113]
	;; [unrolled: 1-line block ×6, first 2 shown]
	v_add_f64_e64 v[112:113], v[60:61], -v[64:65]
	v_add_f64_e64 v[132:133], v[62:63], -v[66:67]
	v_mul_f64_e32 v[198:199], s[46:47], v[96:97]
	v_mul_f64_e32 v[180:181], s[42:43], v[96:97]
	v_fma_f64 v[204:205], v[94:95], s[22:23], v[182:183]
	v_fma_f64 v[206:207], v[122:123], s[22:23], -v[188:189]
	v_fma_f64 v[208:209], v[94:95], s[40:41], v[164:165]
	v_fma_f64 v[210:211], v[122:123], s[40:41], -v[170:171]
	v_add_f64_e32 v[104:105], v[116:117], v[104:105]
	v_add_f64_e32 v[106:107], v[134:135], v[106:107]
	;; [unrolled: 1-line block ×6, first 2 shown]
	v_mul_f64_e32 v[202:203], s[24:25], v[112:113]
	v_mul_f64_e32 v[200:201], s[24:25], v[132:133]
	v_mul_f64_e32 v[190:191], s[44:45], v[132:133]
	v_mul_f64_e32 v[194:195], s[44:45], v[112:113]
	v_fma_f64 v[212:213], v[108:109], s[38:39], v[196:197]
	v_fma_f64 v[214:215], v[128:129], s[38:39], -v[198:199]
	v_fma_f64 v[216:217], v[108:109], s[28:29], v[178:179]
	v_fma_f64 v[218:219], v[128:129], s[28:29], -v[180:181]
	v_add_f64_e32 v[104:105], v[204:205], v[104:105]
	v_add_f64_e32 v[106:107], v[206:207], v[106:107]
	;; [unrolled: 1-line block ×4, first 2 shown]
	v_fma_f64 v[206:207], v[134:135], s[30:31], -v[202:203]
	v_fma_f64 v[204:205], v[116:117], s[30:31], v[200:201]
	v_fma_f64 v[208:209], v[116:117], s[6:7], v[190:191]
	v_fma_f64 v[210:211], v[134:135], s[6:7], -v[194:195]
	v_add_f64_e32 v[104:105], v[212:213], v[104:105]
	v_add_f64_e32 v[106:107], v[214:215], v[106:107]
	;; [unrolled: 1-line block ×4, first 2 shown]
	s_delay_alu instid0(VALU_DEP_4) | instskip(NEXT) | instid1(VALU_DEP_4)
	v_add_f64_e32 v[100:101], v[204:205], v[104:105]
	v_add_f64_e32 v[102:103], v[206:207], v[106:107]
	s_delay_alu instid0(VALU_DEP_4) | instskip(NEXT) | instid1(VALU_DEP_4)
	v_add_f64_e32 v[104:105], v[208:209], v[212:213]
	v_add_f64_e32 v[106:107], v[210:211], v[214:215]
	s_and_saveexec_b32 s33, vcc_lo
	s_cbranch_execz .LBB0_7
; %bb.6:
	v_add_f64_e32 v[20:21], v[0:1], v[20:21]
	v_add_f64_e32 v[22:23], v[2:3], v[22:23]
	s_mov_b32 s53, 0x3fe9895b
	s_mov_b32 s52, s18
	;; [unrolled: 1-line block ×8, first 2 shown]
	v_mul_f64_e32 v[206:207], s[16:17], v[134:135]
	v_mul_f64_e32 v[208:209], s[50:51], v[132:133]
	;; [unrolled: 1-line block ×4, first 2 shown]
	v_add_f64_e32 v[20:21], v[20:21], v[28:29]
	v_add_f64_e32 v[22:23], v[22:23], v[30:31]
	v_mul_f64_e32 v[28:29], s[28:29], v[166:167]
	s_delay_alu instid0(VALU_DEP_3) | instskip(NEXT) | instid1(VALU_DEP_3)
	v_add_f64_e32 v[20:21], v[20:21], v[32:33]
	v_add_f64_e32 v[22:23], v[22:23], v[34:35]
	v_mul_f64_e32 v[34:35], s[14:15], v[160:161]
	s_delay_alu instid0(VALU_DEP_4)
	v_fma_f64 v[30:31], v[168:169], s[42:43], v[28:29]
	v_fma_f64 v[28:29], v[168:169], s[26:27], v[28:29]
	v_mul_f64_e32 v[32:33], s[14:15], v[166:167]
	v_add_f64_e32 v[20:21], v[20:21], v[36:37]
	v_add_f64_e32 v[22:23], v[22:23], v[38:39]
	v_mul_f64_e32 v[38:39], s[24:25], v[162:163]
	v_add_f64_e64 v[34:35], v[34:35], -v[186:187]
	v_mul_f64_e32 v[36:37], s[6:7], v[166:167]
	v_add_f64_e32 v[32:33], v[192:193], v[32:33]
	v_add_f64_e32 v[28:29], v[2:3], v[28:29]
	;; [unrolled: 1-line block ×4, first 2 shown]
	v_mul_f64_e32 v[44:45], s[34:35], v[162:163]
	v_mul_f64_e32 v[46:47], s[20:21], v[162:163]
	v_add_f64_e32 v[36:37], v[184:185], v[36:37]
	v_add_f64_e32 v[184:185], v[2:3], v[30:31]
	;; [unrolled: 1-line block ×4, first 2 shown]
	v_mul_f64_e32 v[48:49], s[26:27], v[162:163]
	v_fma_f64 v[50:51], v[160:161], s[30:31], v[38:39]
	v_fma_f64 v[38:39], v[160:161], s[30:31], -v[38:39]
	v_add_f64_e32 v[20:21], v[20:21], v[56:57]
	v_add_f64_e32 v[22:23], v[22:23], v[58:59]
	v_fma_f64 v[56:57], v[160:161], s[40:41], v[44:45]
	v_fma_f64 v[44:45], v[160:161], s[40:41], -v[44:45]
	v_fma_f64 v[58:59], v[160:161], s[16:17], v[46:47]
	v_fma_f64 v[46:47], v[160:161], s[16:17], -v[46:47]
	v_add_f64_e32 v[50:51], v[0:1], v[50:51]
	v_add_f64_e32 v[38:39], v[0:1], v[38:39]
	;; [unrolled: 1-line block ×4, first 2 shown]
	v_mul_f64_e32 v[62:63], s[6:7], v[160:161]
	v_fma_f64 v[60:61], v[160:161], s[28:29], v[48:49]
	v_fma_f64 v[48:49], v[160:161], s[28:29], -v[48:49]
	v_add_f64_e32 v[56:57], v[0:1], v[56:57]
	v_add_f64_e32 v[44:45], v[0:1], v[44:45]
	;; [unrolled: 1-line block ×6, first 2 shown]
	v_add_f64_e64 v[62:63], v[62:63], -v[176:177]
	v_add_f64_e32 v[60:61], v[0:1], v[60:61]
	v_add_f64_e32 v[30:31], v[0:1], v[48:49]
	;; [unrolled: 1-line block ×4, first 2 shown]
	s_delay_alu instid0(VALU_DEP_2) | instskip(NEXT) | instid1(VALU_DEP_2)
	v_add_f64_e32 v[20:21], v[20:21], v[40:41]
	v_add_f64_e32 v[22:23], v[22:23], v[42:43]
	v_mul_f64_e32 v[40:41], s[46:47], v[162:163]
	v_mul_f64_e32 v[42:43], s[18:19], v[162:163]
	s_delay_alu instid0(VALU_DEP_4) | instskip(NEXT) | instid1(VALU_DEP_4)
	v_add_f64_e32 v[20:21], v[20:21], v[24:25]
	v_add_f64_e32 v[22:23], v[22:23], v[26:27]
	v_mul_f64_e32 v[24:25], s[16:17], v[166:167]
	v_fma_f64 v[52:53], v[160:161], s[38:39], v[40:41]
	v_fma_f64 v[40:41], v[160:161], s[38:39], -v[40:41]
	v_fma_f64 v[54:55], v[160:161], s[22:23], v[42:43]
	v_fma_f64 v[42:43], v[160:161], s[22:23], -v[42:43]
	v_add_f64_e32 v[16:17], v[20:21], v[16:17]
	v_add_f64_e32 v[18:19], v[22:23], v[18:19]
	v_mul_f64_e32 v[20:21], s[40:41], v[166:167]
	v_fma_f64 v[26:27], v[168:169], s[50:51], v[24:25]
	v_fma_f64 v[24:25], v[168:169], s[20:21], v[24:25]
	v_add_f64_e32 v[52:53], v[0:1], v[52:53]
	v_add_f64_e32 v[40:41], v[0:1], v[40:41]
	;; [unrolled: 1-line block ×6, first 2 shown]
	v_mul_f64_e32 v[16:17], s[22:23], v[166:167]
	v_fma_f64 v[22:23], v[168:169], s[48:49], v[20:21]
	v_fma_f64 v[20:21], v[168:169], s[34:35], v[20:21]
	v_add_f64_e32 v[176:177], v[2:3], v[24:25]
	v_add_f64_e32 v[24:25], v[2:3], v[32:33]
	;; [unrolled: 1-line block ×3, first 2 shown]
	v_mul_f64_e32 v[12:13], s[38:39], v[166:167]
	v_add_f64_e32 v[10:11], v[14:15], v[10:11]
	v_fma_f64 v[18:19], v[168:169], s[52:53], v[16:17]
	v_fma_f64 v[16:17], v[168:169], s[18:19], v[16:17]
	v_add_f64_e32 v[162:163], v[2:3], v[22:23]
	v_add_f64_e32 v[22:23], v[0:1], v[62:63]
	;; [unrolled: 1-line block ×3, first 2 shown]
	v_mul_f64_e32 v[8:9], s[30:31], v[166:167]
	v_fma_f64 v[14:15], v[168:169], s[36:37], v[12:13]
	v_fma_f64 v[12:13], v[168:169], s[46:47], v[12:13]
	v_add_f64_e32 v[6:7], v[10:11], v[6:7]
	v_add_f64_e32 v[160:161], v[2:3], v[16:17]
	v_mul_f64_e32 v[16:17], s[38:39], v[92:93]
	v_add_f64_e32 v[66:67], v[2:3], v[18:19]
	v_add_f64_e32 v[166:167], v[2:3], v[20:21]
	;; [unrolled: 1-line block ×3, first 2 shown]
	v_fma_f64 v[10:11], v[168:169], s[54:55], v[8:9]
	v_fma_f64 v[8:9], v[168:169], s[24:25], v[8:9]
	v_add_f64_e32 v[64:65], v[2:3], v[12:13]
	v_mul_f64_e32 v[12:13], s[6:7], v[86:87]
	v_add_f64_e32 v[168:169], v[2:3], v[26:27]
	v_add_f64_e32 v[26:27], v[0:1], v[34:35]
	v_fma_f64 v[18:19], v[72:73], s[36:37], v[16:17]
	v_add_f64_e32 v[14:15], v[2:3], v[14:15]
	v_add_f64_e32 v[10:11], v[2:3], v[10:11]
	v_add_f64_e32 v[8:9], v[2:3], v[8:9]
	v_fma_f64 v[0:1], v[68:69], s[0:1], v[12:13]
	v_fma_f64 v[12:13], v[68:69], s[44:45], v[12:13]
	s_delay_alu instid0(VALU_DEP_2) | instskip(SKIP_1) | instid1(VALU_DEP_3)
	v_add_f64_e32 v[0:1], v[0:1], v[10:11]
	v_mul_f64_e32 v[10:11], s[44:45], v[82:83]
	v_add_f64_e32 v[8:9], v[12:13], v[8:9]
	v_fma_f64 v[12:13], v[72:73], s[46:47], v[16:17]
	v_fma_f64 v[16:17], v[116:117], s[16:17], -v[208:209]
	v_add_f64_e32 v[0:1], v[18:19], v[0:1]
	v_fma_f64 v[2:3], v[70:71], s[6:7], v[10:11]
	v_mul_f64_e32 v[18:19], s[46:47], v[88:89]
	v_fma_f64 v[10:11], v[70:71], s[6:7], -v[10:11]
	v_add_f64_e32 v[8:9], v[12:13], v[8:9]
	s_delay_alu instid0(VALU_DEP_4) | instskip(NEXT) | instid1(VALU_DEP_4)
	v_add_f64_e32 v[2:3], v[2:3], v[50:51]
	v_fma_f64 v[32:33], v[74:75], s[38:39], v[18:19]
	s_delay_alu instid0(VALU_DEP_4) | instskip(SKIP_2) | instid1(VALU_DEP_4)
	v_add_f64_e32 v[10:11], v[10:11], v[38:39]
	v_fma_f64 v[12:13], v[74:75], s[38:39], -v[18:19]
	v_mul_f64_e32 v[18:19], s[42:43], v[82:83]
	v_add_f64_e32 v[2:3], v[32:33], v[2:3]
	v_mul_f64_e32 v[32:33], s[14:15], v[110:111]
	s_delay_alu instid0(VALU_DEP_4) | instskip(NEXT) | instid1(VALU_DEP_2)
	v_add_f64_e32 v[10:11], v[12:13], v[10:11]
	v_fma_f64 v[34:35], v[76:77], s[10:11], v[32:33]
	v_fma_f64 v[12:13], v[76:77], s[56:57], v[32:33]
	v_mul_f64_e32 v[32:33], s[16:17], v[92:93]
	s_delay_alu instid0(VALU_DEP_3) | instskip(SKIP_1) | instid1(VALU_DEP_4)
	v_add_f64_e32 v[0:1], v[34:35], v[0:1]
	v_mul_f64_e32 v[34:35], s[56:57], v[98:99]
	v_add_f64_e32 v[8:9], v[12:13], v[8:9]
	s_delay_alu instid0(VALU_DEP_2) | instskip(SKIP_3) | instid1(VALU_DEP_4)
	v_fma_f64 v[36:37], v[78:79], s[14:15], v[34:35]
	v_fma_f64 v[12:13], v[78:79], s[14:15], -v[34:35]
	v_fma_f64 v[34:35], v[72:73], s[50:51], v[32:33]
	v_fma_f64 v[32:33], v[72:73], s[20:21], v[32:33]
	v_add_f64_e32 v[2:3], v[36:37], v[2:3]
	v_mul_f64_e32 v[36:37], s[22:23], v[118:119]
	v_add_f64_e32 v[10:11], v[12:13], v[10:11]
	s_delay_alu instid0(VALU_DEP_2) | instskip(SKIP_1) | instid1(VALU_DEP_2)
	v_fma_f64 v[48:49], v[80:81], s[52:53], v[36:37]
	v_fma_f64 v[12:13], v[80:81], s[18:19], v[36:37]
	v_add_f64_e32 v[0:1], v[48:49], v[0:1]
	v_mul_f64_e32 v[48:49], s[18:19], v[114:115]
	s_delay_alu instid0(VALU_DEP_3) | instskip(NEXT) | instid1(VALU_DEP_2)
	v_add_f64_e32 v[8:9], v[12:13], v[8:9]
	v_fma_f64 v[50:51], v[84:85], s[22:23], v[48:49]
	v_fma_f64 v[12:13], v[84:85], s[22:23], -v[48:49]
	s_delay_alu instid0(VALU_DEP_2) | instskip(SKIP_1) | instid1(VALU_DEP_3)
	v_add_f64_e32 v[2:3], v[50:51], v[2:3]
	v_mul_f64_e32 v[50:51], s[28:29], v[122:123]
	v_add_f64_e32 v[10:11], v[12:13], v[10:11]
	s_delay_alu instid0(VALU_DEP_2) | instskip(SKIP_1) | instid1(VALU_DEP_2)
	v_fma_f64 v[62:63], v[90:91], s[26:27], v[50:51]
	v_fma_f64 v[12:13], v[90:91], s[42:43], v[50:51]
	v_add_f64_e32 v[0:1], v[62:63], v[0:1]
	v_mul_f64_e32 v[62:63], s[42:43], v[120:121]
	s_delay_alu instid0(VALU_DEP_3) | instskip(NEXT) | instid1(VALU_DEP_2)
	v_add_f64_e32 v[8:9], v[12:13], v[8:9]
	v_fma_f64 v[186:187], v[94:95], s[28:29], v[62:63]
	v_fma_f64 v[12:13], v[94:95], s[28:29], -v[62:63]
	s_delay_alu instid0(VALU_DEP_2) | instskip(SKIP_1) | instid1(VALU_DEP_3)
	v_add_f64_e32 v[2:3], v[186:187], v[2:3]
	v_mul_f64_e32 v[186:187], s[40:41], v[128:129]
	v_add_f64_e32 v[10:11], v[12:13], v[10:11]
	s_delay_alu instid0(VALU_DEP_2) | instskip(SKIP_1) | instid1(VALU_DEP_2)
	v_fma_f64 v[192:193], v[96:97], s[48:49], v[186:187]
	v_fma_f64 v[12:13], v[96:97], s[34:35], v[186:187]
	v_add_f64_e32 v[0:1], v[192:193], v[0:1]
	v_mul_f64_e32 v[192:193], s[34:35], v[124:125]
	s_delay_alu instid0(VALU_DEP_3) | instskip(NEXT) | instid1(VALU_DEP_2)
	v_add_f64_e32 v[8:9], v[12:13], v[8:9]
	v_fma_f64 v[12:13], v[108:109], s[40:41], -v[192:193]
	v_fma_f64 v[204:205], v[108:109], s[40:41], v[192:193]
	s_delay_alu instid0(VALU_DEP_2) | instskip(SKIP_1) | instid1(VALU_DEP_3)
	v_add_f64_e32 v[12:13], v[12:13], v[10:11]
	v_fma_f64 v[10:11], v[112:113], s[50:51], v[206:207]
	v_add_f64_e32 v[204:205], v[204:205], v[2:3]
	v_fma_f64 v[2:3], v[112:113], s[20:21], v[206:207]
	v_mul_f64_e32 v[206:207], s[40:41], v[134:135]
	s_delay_alu instid0(VALU_DEP_4)
	v_add_f64_e32 v[10:11], v[10:11], v[8:9]
	v_add_f64_e32 v[8:9], v[16:17], v[12:13]
	v_mul_f64_e32 v[16:17], s[28:29], v[86:87]
	v_add_f64_e32 v[2:3], v[2:3], v[0:1]
	v_fma_f64 v[0:1], v[116:117], s[16:17], v[208:209]
	v_mul_f64_e32 v[208:209], s[34:35], v[132:133]
	s_delay_alu instid0(VALU_DEP_4) | instskip(SKIP_1) | instid1(VALU_DEP_4)
	v_fma_f64 v[12:13], v[68:69], s[26:27], v[16:17]
	v_fma_f64 v[16:17], v[68:69], s[42:43], v[16:17]
	v_add_f64_e32 v[0:1], v[0:1], v[204:205]
	s_delay_alu instid0(VALU_DEP_3) | instskip(SKIP_1) | instid1(VALU_DEP_4)
	v_add_f64_e32 v[12:13], v[12:13], v[14:15]
	v_fma_f64 v[14:15], v[70:71], s[28:29], v[18:19]
	v_add_f64_e32 v[16:17], v[16:17], v[64:65]
	v_fma_f64 v[18:19], v[70:71], s[28:29], -v[18:19]
	v_mul_f64_e32 v[64:65], s[18:19], v[82:83]
	v_add_f64_e32 v[12:13], v[34:35], v[12:13]
	v_mul_f64_e32 v[34:35], s[20:21], v[88:89]
	v_add_f64_e32 v[14:15], v[14:15], v[52:53]
	v_add_f64_e32 v[18:19], v[18:19], v[40:41]
	;; [unrolled: 1-line block ×3, first 2 shown]
	v_mul_f64_e32 v[40:41], s[28:29], v[74:75]
	v_fma_f64 v[36:37], v[74:75], s[16:17], v[34:35]
	v_fma_f64 v[32:33], v[74:75], s[16:17], -v[34:35]
	v_fma_f64 v[34:35], v[116:117], s[40:41], -v[208:209]
	s_delay_alu instid0(VALU_DEP_4) | instskip(SKIP_4) | instid1(VALU_DEP_2)
	v_add_f64_e64 v[40:41], v[40:41], -v[144:145]
	v_mul_f64_e32 v[144:145], s[6:7], v[122:123]
	v_add_f64_e32 v[14:15], v[36:37], v[14:15]
	v_mul_f64_e32 v[36:37], s[22:23], v[110:111]
	v_add_f64_e32 v[18:19], v[32:33], v[18:19]
	v_fma_f64 v[38:39], v[76:77], s[18:19], v[36:37]
	v_fma_f64 v[32:33], v[76:77], s[52:53], v[36:37]
	v_mul_f64_e32 v[36:37], s[14:15], v[86:87]
	s_delay_alu instid0(VALU_DEP_3) | instskip(SKIP_1) | instid1(VALU_DEP_4)
	v_add_f64_e32 v[12:13], v[38:39], v[12:13]
	v_mul_f64_e32 v[38:39], s[52:53], v[98:99]
	v_add_f64_e32 v[16:17], v[32:33], v[16:17]
	s_delay_alu instid0(VALU_DEP_4) | instskip(SKIP_1) | instid1(VALU_DEP_4)
	v_add_f64_e32 v[36:37], v[138:139], v[36:37]
	v_mul_f64_e32 v[138:139], s[48:49], v[98:99]
	v_fma_f64 v[48:49], v[78:79], s[22:23], v[38:39]
	v_fma_f64 v[32:33], v[78:79], s[22:23], -v[38:39]
	v_mul_f64_e32 v[38:39], s[16:17], v[78:79]
	v_add_f64_e32 v[20:21], v[36:37], v[20:21]
	v_mul_f64_e32 v[36:37], s[22:23], v[94:95]
	v_add_f64_e32 v[14:15], v[48:49], v[14:15]
	v_mul_f64_e32 v[48:49], s[6:7], v[118:119]
	v_add_f64_e32 v[18:19], v[32:33], v[18:19]
	v_add_f64_e64 v[38:39], v[38:39], -v[152:153]
	v_add_f64_e64 v[36:37], v[36:37], -v[182:183]
	v_mul_f64_e32 v[152:153], s[38:39], v[134:135]
	v_mul_f64_e32 v[182:183], s[22:23], v[128:129]
	v_fma_f64 v[50:51], v[80:81], s[44:45], v[48:49]
	v_fma_f64 v[32:33], v[80:81], s[0:1], v[48:49]
	v_mul_f64_e32 v[48:49], s[14:15], v[70:71]
	s_delay_alu instid0(VALU_DEP_3) | instskip(SKIP_1) | instid1(VALU_DEP_4)
	v_add_f64_e32 v[12:13], v[50:51], v[12:13]
	v_mul_f64_e32 v[50:51], s[0:1], v[114:115]
	v_add_f64_e32 v[16:17], v[32:33], v[16:17]
	s_delay_alu instid0(VALU_DEP_4) | instskip(SKIP_1) | instid1(VALU_DEP_4)
	v_add_f64_e64 v[48:49], v[48:49], -v[136:137]
	v_mul_f64_e32 v[136:137], s[40:41], v[110:111]
	v_fma_f64 v[52:53], v[84:85], s[6:7], v[50:51]
	v_fma_f64 v[32:33], v[84:85], s[6:7], -v[50:51]
	s_delay_alu instid0(VALU_DEP_4)
	v_add_f64_e32 v[22:23], v[48:49], v[22:23]
	v_mul_f64_e32 v[50:51], s[40:41], v[118:119]
	v_mul_f64_e32 v[48:49], s[16:17], v[70:71]
	v_add_f64_e32 v[14:15], v[52:53], v[14:15]
	v_mul_f64_e32 v[52:53], s[30:31], v[122:123]
	v_add_f64_e32 v[18:19], v[32:33], v[18:19]
	v_add_f64_e32 v[22:23], v[40:41], v[22:23]
	;; [unrolled: 1-line block ×3, first 2 shown]
	v_mul_f64_e32 v[40:41], s[22:23], v[74:75]
	v_add_f64_e64 v[48:49], v[48:49], -v[126:127]
	v_mul_f64_e32 v[126:127], s[30:31], v[92:93]
	v_mul_f64_e32 v[174:175], s[28:29], v[118:119]
	v_fma_f64 v[62:63], v[90:91], s[54:55], v[52:53]
	v_fma_f64 v[32:33], v[90:91], s[24:25], v[52:53]
	v_mul_f64_e32 v[52:53], s[40:41], v[84:85]
	v_add_f64_e32 v[22:23], v[38:39], v[22:23]
	v_mul_f64_e32 v[38:39], s[30:31], v[134:135]
	v_add_f64_e64 v[40:41], v[40:41], -v[140:141]
	v_add_f64_e32 v[26:27], v[48:49], v[26:27]
	v_mul_f64_e32 v[140:141], s[14:15], v[118:119]
	v_mul_f64_e32 v[48:49], s[38:39], v[86:87]
	v_add_f64_e32 v[12:13], v[62:63], v[12:13]
	v_mul_f64_e32 v[62:63], s[24:25], v[120:121]
	v_add_f64_e32 v[16:17], v[32:33], v[16:17]
	v_add_f64_e64 v[52:53], v[52:53], -v[172:173]
	v_add_f64_e32 v[38:39], v[202:203], v[38:39]
	v_mul_f64_e32 v[172:173], s[44:45], v[98:99]
	v_add_f64_e32 v[26:27], v[40:41], v[26:27]
	v_mul_f64_e32 v[202:203], s[16:17], v[122:123]
	v_fma_f64 v[186:187], v[94:95], s[30:31], v[62:63]
	v_fma_f64 v[32:33], v[94:95], s[30:31], -v[62:63]
	v_mul_f64_e32 v[62:63], s[22:23], v[122:123]
	v_add_f64_e32 v[22:23], v[52:53], v[22:23]
	v_mul_f64_e32 v[52:53], s[38:39], v[84:85]
	v_add_f64_e32 v[14:15], v[186:187], v[14:15]
	;; [unrolled: 2-line block ×3, first 2 shown]
	v_add_f64_e32 v[62:63], v[188:189], v[62:63]
	v_add_f64_e32 v[22:23], v[36:37], v[22:23]
	v_mul_f64_e32 v[36:37], s[30:31], v[116:117]
	v_add_f64_e64 v[52:53], v[52:53], -v[154:155]
	v_mul_f64_e32 v[154:155], s[46:47], v[132:133]
	v_mul_f64_e32 v[188:189], s[14:15], v[134:135]
	v_fma_f64 v[192:193], v[96:97], s[10:11], v[186:187]
	v_fma_f64 v[32:33], v[96:97], s[56:57], v[186:187]
	v_mul_f64_e32 v[186:187], s[52:53], v[124:125]
	v_add_f64_e64 v[36:37], v[36:37], -v[200:201]
	v_mul_f64_e32 v[200:201], s[24:25], v[114:115]
	v_add_f64_e32 v[12:13], v[192:193], v[12:13]
	v_mul_f64_e32 v[192:193], s[56:57], v[124:125]
	v_add_f64_e32 v[16:17], v[32:33], v[16:17]
	s_delay_alu instid0(VALU_DEP_2) | instskip(SKIP_2) | instid1(VALU_DEP_3)
	v_fma_f64 v[32:33], v[108:109], s[14:15], -v[192:193]
	v_fma_f64 v[204:205], v[108:109], s[14:15], v[192:193]
	v_mul_f64_e32 v[192:193], s[56:57], v[88:89]
	v_add_f64_e32 v[32:33], v[32:33], v[18:19]
	v_fma_f64 v[18:19], v[112:113], s[34:35], v[206:207]
	s_delay_alu instid0(VALU_DEP_4) | instskip(SKIP_2) | instid1(VALU_DEP_4)
	v_add_f64_e32 v[204:205], v[204:205], v[14:15]
	v_fma_f64 v[14:15], v[112:113], s[48:49], v[206:207]
	v_mul_f64_e32 v[206:207], s[6:7], v[128:129]
	v_add_f64_e32 v[18:19], v[18:19], v[16:17]
	v_add_f64_e32 v[16:17], v[34:35], v[32:33]
	v_mul_f64_e32 v[34:35], s[28:29], v[92:93]
	v_mul_f64_e32 v[32:33], s[16:17], v[110:111]
	v_add_f64_e32 v[14:15], v[14:15], v[12:13]
	v_fma_f64 v[12:13], v[116:117], s[40:41], v[208:209]
	v_mul_f64_e32 v[208:209], s[0:1], v[124:125]
	v_add_f64_e32 v[34:35], v[148:149], v[34:35]
	v_add_f64_e32 v[32:33], v[158:159], v[32:33]
	v_mul_f64_e32 v[148:149], s[16:17], v[128:129]
	v_mul_f64_e32 v[158:159], s[40:41], v[92:93]
	v_add_f64_e32 v[12:13], v[12:13], v[204:205]
	v_mul_f64_e32 v[204:205], s[50:51], v[120:121]
	v_add_f64_e32 v[20:21], v[34:35], v[20:21]
	v_mul_f64_e32 v[34:35], s[38:39], v[128:129]
	s_delay_alu instid0(VALU_DEP_2) | instskip(SKIP_1) | instid1(VALU_DEP_3)
	v_add_f64_e32 v[20:21], v[32:33], v[20:21]
	v_mul_f64_e32 v[32:33], s[38:39], v[108:109]
	v_add_f64_e32 v[34:35], v[198:199], v[34:35]
	v_mul_f64_e32 v[198:199], s[30:31], v[118:119]
	s_delay_alu instid0(VALU_DEP_4) | instskip(NEXT) | instid1(VALU_DEP_4)
	v_add_f64_e32 v[20:21], v[50:51], v[20:21]
	v_add_f64_e64 v[32:33], v[32:33], -v[196:197]
	v_mul_f64_e32 v[50:51], s[38:39], v[118:119]
	v_mul_f64_e32 v[196:197], s[26:27], v[98:99]
	s_delay_alu instid0(VALU_DEP_4) | instskip(NEXT) | instid1(VALU_DEP_4)
	v_add_f64_e32 v[20:21], v[62:63], v[20:21]
	v_add_f64_e32 v[32:33], v[32:33], v[22:23]
	s_delay_alu instid0(VALU_DEP_4) | instskip(SKIP_4) | instid1(VALU_DEP_4)
	v_add_f64_e32 v[50:51], v[156:157], v[50:51]
	v_mul_f64_e32 v[62:63], s[40:41], v[122:123]
	v_mul_f64_e32 v[156:157], s[24:25], v[82:83]
	v_add_f64_e32 v[20:21], v[34:35], v[20:21]
	v_mul_f64_e32 v[34:35], s[22:23], v[92:93]
	v_add_f64_e32 v[62:63], v[170:171], v[62:63]
	v_mul_f64_e32 v[170:171], s[6:7], v[110:111]
	s_delay_alu instid0(VALU_DEP_4)
	v_add_f64_e32 v[22:23], v[38:39], v[20:21]
	v_add_f64_e32 v[20:21], v[36:37], v[32:33]
	v_mul_f64_e32 v[36:37], s[16:17], v[86:87]
	v_mul_f64_e32 v[32:33], s[30:31], v[110:111]
	v_add_f64_e32 v[34:35], v[142:143], v[34:35]
	v_mul_f64_e32 v[38:39], s[30:31], v[78:79]
	v_mul_f64_e32 v[142:143], s[56:57], v[114:115]
	v_add_f64_e32 v[36:37], v[130:131], v[36:37]
	v_add_f64_e32 v[32:33], v[150:151], v[32:33]
	v_mul_f64_e32 v[130:131], s[54:55], v[88:89]
	v_add_f64_e64 v[38:39], v[38:39], -v[146:147]
	v_mul_f64_e32 v[146:147], s[0:1], v[120:121]
	v_mul_f64_e32 v[150:151], s[20:21], v[124:125]
	v_add_f64_e32 v[24:25], v[36:37], v[24:25]
	v_mul_f64_e32 v[36:37], s[40:41], v[94:95]
	v_add_f64_e32 v[26:27], v[38:39], v[26:27]
	v_mul_f64_e32 v[38:39], s[6:7], v[134:135]
	s_delay_alu instid0(VALU_DEP_4) | instskip(NEXT) | instid1(VALU_DEP_4)
	v_add_f64_e32 v[24:25], v[34:35], v[24:25]
	v_add_f64_e64 v[36:37], v[36:37], -v[164:165]
	v_mul_f64_e32 v[34:35], s[28:29], v[128:129]
	v_add_f64_e32 v[26:27], v[52:53], v[26:27]
	v_add_f64_e32 v[38:39], v[194:195], v[38:39]
	v_mul_f64_e32 v[52:53], s[30:31], v[86:87]
	v_mul_f64_e32 v[164:165], s[48:49], v[88:89]
	;; [unrolled: 1-line block ×3, first 2 shown]
	v_add_f64_e32 v[24:25], v[32:33], v[24:25]
	v_mul_f64_e32 v[32:33], s[28:29], v[108:109]
	v_add_f64_e32 v[34:35], v[180:181], v[34:35]
	v_add_f64_e32 v[26:27], v[36:37], v[26:27]
	v_mul_f64_e32 v[36:37], s[6:7], v[116:117]
	v_mul_f64_e32 v[180:181], s[46:47], v[120:121]
	v_add_f64_e32 v[24:25], v[50:51], v[24:25]
	v_add_f64_e64 v[32:33], v[32:33], -v[178:179]
	v_mul_f64_e32 v[178:179], s[38:39], v[122:123]
	v_mul_f64_e32 v[50:51], s[36:37], v[82:83]
	v_add_f64_e64 v[36:37], v[36:37], -v[190:191]
	v_mul_f64_e32 v[190:191], s[56:57], v[132:133]
	v_mul_f64_e32 v[132:133], s[42:43], v[132:133]
	v_add_f64_e32 v[24:25], v[62:63], v[24:25]
	v_add_f64_e32 v[32:33], v[32:33], v[26:27]
	v_mul_f64_e32 v[62:63], s[22:23], v[86:87]
	s_delay_alu instid0(VALU_DEP_3) | instskip(SKIP_1) | instid1(VALU_DEP_2)
	v_add_f64_e32 v[24:25], v[34:35], v[24:25]
	v_fma_f64 v[34:35], v[70:71], s[30:31], -v[156:157]
	v_add_f64_e32 v[26:27], v[38:39], v[24:25]
	v_add_f64_e32 v[24:25], v[36:37], v[32:33]
	v_fma_f64 v[32:33], v[68:69], s[18:19], v[62:63]
	v_fma_f64 v[36:37], v[72:73], s[48:49], v[158:159]
	v_add_f64_e32 v[34:35], v[34:35], v[46:47]
	v_fma_f64 v[38:39], v[70:71], s[38:39], -v[50:51]
	v_mul_f64_e32 v[46:47], s[48:49], v[82:83]
	v_fma_f64 v[50:51], v[70:71], s[38:39], v[50:51]
	v_add_f64_e32 v[28:29], v[32:33], v[28:29]
	v_fma_f64 v[32:33], v[70:71], s[22:23], -v[64:65]
	v_add_f64_e32 v[38:39], v[38:39], v[44:45]
	v_mul_f64_e32 v[44:45], s[40:41], v[86:87]
	v_fma_f64 v[82:83], v[70:71], s[40:41], -v[46:47]
	v_fma_f64 v[46:47], v[70:71], s[40:41], v[46:47]
	v_add_f64_e32 v[50:51], v[50:51], v[56:57]
	v_fma_f64 v[56:57], v[116:117], s[22:23], v[212:213]
	v_add_f64_e32 v[30:31], v[32:33], v[30:31]
	;; [unrolled: 2-line block ×3, first 2 shown]
	v_mul_f64_e32 v[82:83], s[6:7], v[92:93]
	v_add_f64_e32 v[46:47], v[46:47], v[54:55]
	s_delay_alu instid0(VALU_DEP_4) | instskip(SKIP_1) | instid1(VALU_DEP_4)
	v_add_f64_e32 v[28:29], v[32:33], v[28:29]
	v_fma_f64 v[32:33], v[74:75], s[30:31], -v[130:131]
	v_fma_f64 v[86:87], v[72:73], s[0:1], v[82:83]
	v_fma_f64 v[54:55], v[72:73], s[44:45], v[82:83]
	s_delay_alu instid0(VALU_DEP_3) | instskip(SKIP_1) | instid1(VALU_DEP_1)
	v_add_f64_e32 v[30:31], v[32:33], v[30:31]
	v_fma_f64 v[32:33], v[76:77], s[48:49], v[136:137]
	v_add_f64_e32 v[28:29], v[32:33], v[28:29]
	v_fma_f64 v[32:33], v[78:79], s[40:41], -v[138:139]
	s_delay_alu instid0(VALU_DEP_1) | instskip(SKIP_1) | instid1(VALU_DEP_1)
	v_add_f64_e32 v[30:31], v[32:33], v[30:31]
	v_fma_f64 v[32:33], v[80:81], s[56:57], v[140:141]
	v_add_f64_e32 v[28:29], v[32:33], v[28:29]
	v_fma_f64 v[32:33], v[84:85], s[14:15], -v[142:143]
	s_delay_alu instid0(VALU_DEP_1) | instskip(SKIP_1) | instid1(VALU_DEP_1)
	;; [unrolled: 5-line block ×4, first 2 shown]
	v_add_f64_e32 v[32:33], v[32:33], v[30:31]
	v_fma_f64 v[30:31], v[112:113], s[46:47], v[152:153]
	v_add_f64_e32 v[30:31], v[30:31], v[28:29]
	v_fma_f64 v[28:29], v[116:117], s[38:39], -v[154:155]
	s_delay_alu instid0(VALU_DEP_1) | instskip(SKIP_2) | instid1(VALU_DEP_2)
	v_add_f64_e32 v[28:29], v[28:29], v[32:33]
	v_fma_f64 v[32:33], v[68:69], s[24:25], v[52:53]
	v_fma_f64 v[52:53], v[68:69], s[54:55], v[52:53]
	v_add_f64_e32 v[32:33], v[32:33], v[176:177]
	v_mul_f64_e32 v[176:177], s[26:27], v[114:115]
	s_delay_alu instid0(VALU_DEP_3) | instskip(NEXT) | instid1(VALU_DEP_3)
	v_add_f64_e32 v[52:53], v[52:53], v[168:169]
	v_add_f64_e32 v[32:33], v[36:37], v[32:33]
	v_fma_f64 v[36:37], v[74:75], s[40:41], -v[164:165]
	s_delay_alu instid0(VALU_DEP_1) | instskip(SKIP_1) | instid1(VALU_DEP_1)
	v_add_f64_e32 v[34:35], v[36:37], v[34:35]
	v_fma_f64 v[36:37], v[76:77], s[44:45], v[170:171]
	v_add_f64_e32 v[32:33], v[36:37], v[32:33]
	v_fma_f64 v[36:37], v[78:79], s[6:7], -v[172:173]
	s_delay_alu instid0(VALU_DEP_1) | instskip(SKIP_1) | instid1(VALU_DEP_1)
	v_add_f64_e32 v[34:35], v[36:37], v[34:35]
	v_fma_f64 v[36:37], v[80:81], s[26:27], v[174:175]
	;; [unrolled: 5-line block ×5, first 2 shown]
	v_add_f64_e32 v[34:35], v[34:35], v[32:33]
	v_fma_f64 v[32:33], v[116:117], s[14:15], -v[190:191]
	s_delay_alu instid0(VALU_DEP_1) | instskip(SKIP_2) | instid1(VALU_DEP_2)
	v_add_f64_e32 v[32:33], v[32:33], v[36:37]
	v_fma_f64 v[36:37], v[68:69], s[36:37], v[48:49]
	v_fma_f64 v[48:49], v[68:69], s[46:47], v[48:49]
	v_add_f64_e32 v[36:37], v[36:37], v[166:167]
	v_mul_f64_e32 v[166:167], s[14:15], v[92:93]
	s_delay_alu instid0(VALU_DEP_3) | instskip(NEXT) | instid1(VALU_DEP_2)
	v_add_f64_e32 v[48:49], v[48:49], v[162:163]
	v_fma_f64 v[40:41], v[72:73], s[56:57], v[166:167]
	s_delay_alu instid0(VALU_DEP_1) | instskip(SKIP_1) | instid1(VALU_DEP_1)
	v_add_f64_e32 v[36:37], v[40:41], v[36:37]
	v_fma_f64 v[40:41], v[74:75], s[14:15], -v[192:193]
	v_add_f64_e32 v[38:39], v[40:41], v[38:39]
	v_fma_f64 v[40:41], v[76:77], s[26:27], v[194:195]
	s_delay_alu instid0(VALU_DEP_1) | instskip(SKIP_1) | instid1(VALU_DEP_1)
	v_add_f64_e32 v[36:37], v[40:41], v[36:37]
	v_fma_f64 v[40:41], v[78:79], s[28:29], -v[196:197]
	;; [unrolled: 5-line block ×6, first 2 shown]
	v_add_f64_e32 v[36:37], v[36:37], v[40:41]
	v_fma_f64 v[40:41], v[68:69], s[48:49], v[44:45]
	v_fma_f64 v[44:45], v[68:69], s[34:35], v[44:45]
	s_delay_alu instid0(VALU_DEP_2) | instskip(NEXT) | instid1(VALU_DEP_2)
	v_add_f64_e32 v[40:41], v[40:41], v[160:161]
	v_add_f64_e32 v[44:45], v[44:45], v[66:67]
	v_fma_f64 v[66:67], v[116:117], s[28:29], v[132:133]
	s_delay_alu instid0(VALU_DEP_3) | instskip(SKIP_1) | instid1(VALU_DEP_4)
	v_add_f64_e32 v[40:41], v[86:87], v[40:41]
	v_mul_f64_e32 v[86:87], s[0:1], v[88:89]
	v_add_f64_e32 v[44:45], v[54:55], v[44:45]
	s_delay_alu instid0(VALU_DEP_2) | instskip(SKIP_1) | instid1(VALU_DEP_2)
	v_fma_f64 v[88:89], v[74:75], s[6:7], -v[86:87]
	v_fma_f64 v[54:55], v[74:75], s[6:7], v[86:87]
	v_add_f64_e32 v[42:43], v[88:89], v[42:43]
	v_mul_f64_e32 v[88:89], s[38:39], v[110:111]
	s_delay_alu instid0(VALU_DEP_3) | instskip(NEXT) | instid1(VALU_DEP_2)
	v_add_f64_e32 v[46:47], v[54:55], v[46:47]
	v_fma_f64 v[92:93], v[76:77], s[46:47], v[88:89]
	v_fma_f64 v[54:55], v[76:77], s[36:37], v[88:89]
	s_delay_alu instid0(VALU_DEP_2) | instskip(SKIP_1) | instid1(VALU_DEP_3)
	v_add_f64_e32 v[40:41], v[92:93], v[40:41]
	v_mul_f64_e32 v[92:93], s[46:47], v[98:99]
	v_add_f64_e32 v[44:45], v[54:55], v[44:45]
	s_delay_alu instid0(VALU_DEP_2) | instskip(SKIP_1) | instid1(VALU_DEP_2)
	v_fma_f64 v[98:99], v[78:79], s[38:39], -v[92:93]
	v_fma_f64 v[54:55], v[78:79], s[38:39], v[92:93]
	v_add_f64_e32 v[42:43], v[98:99], v[42:43]
	v_mul_f64_e32 v[98:99], s[16:17], v[118:119]
	s_delay_alu instid0(VALU_DEP_3) | instskip(NEXT) | instid1(VALU_DEP_2)
	v_add_f64_e32 v[46:47], v[54:55], v[46:47]
	v_fma_f64 v[110:111], v[80:81], s[50:51], v[98:99]
	v_fma_f64 v[54:55], v[80:81], s[20:21], v[98:99]
	s_delay_alu instid0(VALU_DEP_2) | instskip(SKIP_1) | instid1(VALU_DEP_3)
	;; [unrolled: 13-line block ×3, first 2 shown]
	v_add_f64_e32 v[40:41], v[118:119], v[40:41]
	v_mul_f64_e32 v[118:119], s[10:11], v[120:121]
	v_add_f64_e32 v[44:45], v[54:55], v[44:45]
	s_delay_alu instid0(VALU_DEP_2) | instskip(SKIP_1) | instid1(VALU_DEP_2)
	v_fma_f64 v[120:121], v[94:95], s[14:15], -v[118:119]
	v_fma_f64 v[54:55], v[94:95], s[14:15], v[118:119]
	v_add_f64_e32 v[42:43], v[120:121], v[42:43]
	v_mul_f64_e32 v[120:121], s[30:31], v[128:129]
	s_delay_alu instid0(VALU_DEP_3) | instskip(SKIP_1) | instid1(VALU_DEP_3)
	v_add_f64_e32 v[46:47], v[54:55], v[46:47]
	v_mul_f64_e32 v[128:129], s[28:29], v[134:135]
	v_fma_f64 v[122:123], v[96:97], s[24:25], v[120:121]
	v_fma_f64 v[54:55], v[96:97], s[54:55], v[120:121]
	s_delay_alu instid0(VALU_DEP_2) | instskip(SKIP_1) | instid1(VALU_DEP_3)
	v_add_f64_e32 v[40:41], v[122:123], v[40:41]
	v_mul_f64_e32 v[122:123], s[24:25], v[124:125]
	v_add_f64_e32 v[44:45], v[54:55], v[44:45]
	s_delay_alu instid0(VALU_DEP_2) | instskip(SKIP_1) | instid1(VALU_DEP_2)
	v_fma_f64 v[54:55], v[108:109], s[30:31], v[122:123]
	v_fma_f64 v[124:125], v[108:109], s[30:31], -v[122:123]
	v_add_f64_e32 v[54:55], v[54:55], v[46:47]
	v_fma_f64 v[46:47], v[112:113], s[26:27], v[128:129]
	s_delay_alu instid0(VALU_DEP_3) | instskip(SKIP_1) | instid1(VALU_DEP_3)
	v_add_f64_e32 v[124:125], v[124:125], v[42:43]
	v_fma_f64 v[42:43], v[112:113], s[42:43], v[128:129]
	v_add_f64_e32 v[46:47], v[46:47], v[44:45]
	v_add_f64_e32 v[44:45], v[66:67], v[54:55]
	v_fma_f64 v[54:55], v[72:73], s[10:11], v[166:167]
	s_delay_alu instid0(VALU_DEP_4) | instskip(SKIP_1) | instid1(VALU_DEP_3)
	v_add_f64_e32 v[42:43], v[42:43], v[40:41]
	v_fma_f64 v[40:41], v[116:117], s[28:29], -v[132:133]
	v_add_f64_e32 v[48:49], v[54:55], v[48:49]
	v_fma_f64 v[54:55], v[74:75], s[14:15], v[192:193]
	s_delay_alu instid0(VALU_DEP_3) | instskip(NEXT) | instid1(VALU_DEP_2)
	v_add_f64_e32 v[40:41], v[40:41], v[124:125]
	v_add_f64_e32 v[50:51], v[54:55], v[50:51]
	v_fma_f64 v[54:55], v[76:77], s[42:43], v[194:195]
	s_delay_alu instid0(VALU_DEP_1) | instskip(SKIP_1) | instid1(VALU_DEP_1)
	v_add_f64_e32 v[48:49], v[54:55], v[48:49]
	v_fma_f64 v[54:55], v[78:79], s[28:29], v[196:197]
	v_add_f64_e32 v[50:51], v[54:55], v[50:51]
	v_fma_f64 v[54:55], v[80:81], s[54:55], v[198:199]
	s_delay_alu instid0(VALU_DEP_1) | instskip(SKIP_1) | instid1(VALU_DEP_1)
	v_add_f64_e32 v[48:49], v[54:55], v[48:49]
	v_fma_f64 v[54:55], v[84:85], s[30:31], v[200:201]
	v_add_f64_e32 v[50:51], v[54:55], v[50:51]
	v_fma_f64 v[54:55], v[90:91], s[20:21], v[202:203]
	s_delay_alu instid0(VALU_DEP_1) | instskip(SKIP_1) | instid1(VALU_DEP_1)
	v_add_f64_e32 v[48:49], v[54:55], v[48:49]
	v_fma_f64 v[54:55], v[94:95], s[16:17], v[204:205]
	v_add_f64_e32 v[50:51], v[54:55], v[50:51]
	v_fma_f64 v[54:55], v[96:97], s[44:45], v[206:207]
	s_delay_alu instid0(VALU_DEP_1) | instskip(SKIP_1) | instid1(VALU_DEP_1)
	v_add_f64_e32 v[48:49], v[54:55], v[48:49]
	v_fma_f64 v[54:55], v[108:109], s[6:7], v[208:209]
	v_add_f64_e32 v[54:55], v[54:55], v[50:51]
	v_fma_f64 v[50:51], v[112:113], s[52:53], v[210:211]
	s_delay_alu instid0(VALU_DEP_1) | instskip(NEXT) | instid1(VALU_DEP_3)
	v_add_f64_e32 v[50:51], v[50:51], v[48:49]
	v_add_f64_e32 v[48:49], v[56:57], v[54:55]
	v_fma_f64 v[54:55], v[70:71], s[30:31], v[156:157]
	v_fma_f64 v[56:57], v[72:73], s[34:35], v[158:159]
	s_delay_alu instid0(VALU_DEP_2) | instskip(NEXT) | instid1(VALU_DEP_2)
	v_add_f64_e32 v[54:55], v[54:55], v[58:59]
	v_add_f64_e32 v[52:53], v[56:57], v[52:53]
	v_fma_f64 v[56:57], v[74:75], s[40:41], v[164:165]
	v_fma_f64 v[58:59], v[116:117], s[14:15], v[190:191]
	s_delay_alu instid0(VALU_DEP_2) | instskip(SKIP_1) | instid1(VALU_DEP_1)
	v_add_f64_e32 v[54:55], v[56:57], v[54:55]
	v_fma_f64 v[56:57], v[76:77], s[0:1], v[170:171]
	v_add_f64_e32 v[52:53], v[56:57], v[52:53]
	v_fma_f64 v[56:57], v[78:79], s[6:7], v[172:173]
	s_delay_alu instid0(VALU_DEP_1) | instskip(SKIP_1) | instid1(VALU_DEP_1)
	v_add_f64_e32 v[54:55], v[56:57], v[54:55]
	v_fma_f64 v[56:57], v[80:81], s[42:43], v[174:175]
	v_add_f64_e32 v[52:53], v[56:57], v[52:53]
	v_fma_f64 v[56:57], v[84:85], s[28:29], v[176:177]
	s_delay_alu instid0(VALU_DEP_1) | instskip(SKIP_1) | instid1(VALU_DEP_1)
	;; [unrolled: 5-line block ×4, first 2 shown]
	v_add_f64_e32 v[56:57], v[56:57], v[54:55]
	v_fma_f64 v[54:55], v[112:113], s[10:11], v[188:189]
	v_add_f64_e32 v[54:55], v[54:55], v[52:53]
	s_delay_alu instid0(VALU_DEP_3) | instskip(SKIP_4) | instid1(VALU_DEP_4)
	v_add_f64_e32 v[52:53], v[58:59], v[56:57]
	v_fma_f64 v[56:57], v[68:69], s[52:53], v[62:63]
	v_fma_f64 v[58:59], v[70:71], s[22:23], v[64:65]
	;; [unrolled: 1-line block ×4, first 2 shown]
	v_add_f64_e32 v[56:57], v[56:57], v[184:185]
	s_delay_alu instid0(VALU_DEP_4) | instskip(SKIP_1) | instid1(VALU_DEP_3)
	v_add_f64_e32 v[58:59], v[58:59], v[60:61]
	v_fma_f64 v[60:61], v[76:77], s[34:35], v[136:137]
	v_add_f64_e32 v[56:57], v[62:63], v[56:57]
	v_fma_f64 v[62:63], v[78:79], s[40:41], v[138:139]
	s_delay_alu instid0(VALU_DEP_4) | instskip(SKIP_1) | instid1(VALU_DEP_4)
	v_add_f64_e32 v[58:59], v[64:65], v[58:59]
	v_fma_f64 v[64:65], v[80:81], s[10:11], v[140:141]
	v_add_f64_e32 v[56:57], v[60:61], v[56:57]
	v_fma_f64 v[60:61], v[84:85], s[14:15], v[142:143]
	s_delay_alu instid0(VALU_DEP_4) | instskip(SKIP_1) | instid1(VALU_DEP_4)
	v_add_f64_e32 v[58:59], v[62:63], v[58:59]
	v_fma_f64 v[62:63], v[90:91], s[44:45], v[144:145]
	v_add_f64_e32 v[56:57], v[64:65], v[56:57]
	v_fma_f64 v[64:65], v[94:95], s[6:7], v[146:147]
	s_delay_alu instid0(VALU_DEP_4) | instskip(SKIP_1) | instid1(VALU_DEP_4)
	v_add_f64_e32 v[58:59], v[60:61], v[58:59]
	v_fma_f64 v[60:61], v[96:97], s[50:51], v[148:149]
	v_add_f64_e32 v[56:57], v[62:63], v[56:57]
	v_fma_f64 v[62:63], v[108:109], s[16:17], v[150:151]
	s_delay_alu instid0(VALU_DEP_4) | instskip(SKIP_1) | instid1(VALU_DEP_4)
	v_add_f64_e32 v[58:59], v[64:65], v[58:59]
	v_fma_f64 v[64:65], v[112:113], s[36:37], v[152:153]
	v_add_f64_e32 v[56:57], v[60:61], v[56:57]
	v_fma_f64 v[60:61], v[116:117], s[38:39], v[154:155]
	s_delay_alu instid0(VALU_DEP_4) | instskip(NEXT) | instid1(VALU_DEP_3)
	v_add_f64_e32 v[62:63], v[62:63], v[58:59]
	v_add_f64_e32 v[58:59], v[64:65], v[56:57]
	s_delay_alu instid0(VALU_DEP_2) | instskip(SKIP_1) | instid1(VALU_DEP_1)
	v_add_f64_e32 v[56:57], v[60:61], v[62:63]
	v_mul_lo_u16 v60, v246, 17
	v_and_b32_e32 v60, 0xffff, v60
	s_delay_alu instid0(VALU_DEP_1)
	v_lshlrev_b32_e32 v60, 4, v60
	ds_store_b128 v60, v[4:7]
	ds_store_b128 v60, v[20:23] offset:16
	ds_store_b128 v60, v[24:27] offset:32
	ds_store_b128 v60, v[28:31] offset:48
	ds_store_b128 v60, v[32:35] offset:64
	ds_store_b128 v60, v[36:39] offset:80
	ds_store_b128 v60, v[40:43] offset:96
	ds_store_b128 v60, v[16:19] offset:112
	ds_store_b128 v60, v[8:11] offset:128
	ds_store_b128 v60, v[0:3] offset:144
	ds_store_b128 v60, v[12:15] offset:160
	ds_store_b128 v60, v[44:47] offset:176
	ds_store_b128 v60, v[48:51] offset:192
	ds_store_b128 v60, v[52:55] offset:208
	ds_store_b128 v60, v[56:59] offset:224
	ds_store_b128 v60, v[104:107] offset:240
	ds_store_b128 v60, v[100:103] offset:256
.LBB0_7:
	s_or_b32 exec_lo, exec_lo, s33
	v_add_co_u32 v172, s0, 0x66, v246
	s_wait_alu 0xf1ff
	v_add_co_ci_u32_e64 v173, null, 0, 0, s0
	v_add_co_u32 v2, null, 0x132, v246
	v_and_b32_e32 v0, 0xff, v246
	v_add_co_u32 v174, s0, 0xcc, v246
	v_and_b32_e32 v1, 0xff, v172
	s_delay_alu instid0(VALU_DEP_4) | instskip(NEXT) | instid1(VALU_DEP_4)
	v_and_b32_e32 v5, 0xffff, v2
	v_mul_lo_u16 v3, 0xf1, v0
	s_delay_alu instid0(VALU_DEP_4) | instskip(SKIP_2) | instid1(VALU_DEP_4)
	v_and_b32_e32 v0, 0xffff, v174
	v_add_co_u32 v6, null, 0x198, v246
	v_mul_lo_u16 v4, 0xf1, v1
	v_lshrrev_b16 v40, 12, v3
	s_delay_alu instid0(VALU_DEP_4)
	v_mul_u32_u24_e32 v7, 0xf0f1, v0
	v_mul_u32_u24_e32 v3, 0xf0f1, v5
	s_load_b128 s[4:7], s[4:5], 0x0
	v_lshrrev_b16 v41, 12, v4
	v_and_b32_e32 v4, 0xffff, v6
	v_lshrrev_b32_e32 v42, 20, v7
	v_mul_lo_u16 v5, v40, 17
	v_lshrrev_b32_e32 v43, 20, v3
	v_mul_lo_u16 v7, v41, 17
	v_mul_u32_u24_e32 v3, 0xf0f1, v4
	v_mul_lo_u16 v4, v42, 17
	v_sub_nc_u16 v5, v246, v5
	v_mul_lo_u16 v8, v43, 17
	v_sub_nc_u16 v7, v172, v7
	v_lshrrev_b32_e32 v44, 20, v3
	v_sub_nc_u16 v45, v174, v4
	v_and_b32_e32 v46, 0xff, v5
	v_sub_nc_u16 v48, v2, v8
	v_and_b32_e32 v47, 0xff, v7
	v_mul_lo_u16 v2, v44, 17
	v_lshlrev_b16 v3, 1, v45
	v_lshlrev_b32_e32 v4, 5, v46
	v_lshlrev_b16 v7, 1, v48
	global_wb scope:SCOPE_SE
	s_wait_dscnt 0x0
	v_sub_nc_u16 v49, v6, v2
	s_wait_kmcnt 0x0
	s_barrier_signal -1
	s_barrier_wait -1
	global_inv scope:SCOPE_SE
	v_and_b32_e32 v2, 0xffff, v3
	s_clause 0x1
	global_load_b128 v[50:53], v4, s[2:3] offset:16
	global_load_b128 v[126:129], v4, s[2:3]
	v_lshlrev_b16 v4, 1, v49
	v_and_b32_e32 v3, 0xffff, v7
	v_lshlrev_b32_e32 v5, 5, v47
	v_lshlrev_b32_e32 v2, 4, v2
	s_clause 0x1
	global_load_b128 v[130:133], v5, s[2:3]
	global_load_b128 v[118:121], v5, s[2:3] offset:16
	v_and_b32_e32 v4, 0xffff, v4
	v_lshlrev_b32_e32 v3, 4, v3
	s_clause 0x2
	global_load_b128 v[134:137], v2, s[2:3]
	global_load_b128 v[122:125], v2, s[2:3] offset:16
	global_load_b128 v[54:57], v3, s[2:3]
	v_lshlrev_b32_e32 v2, 4, v4
	s_clause 0x2
	global_load_b128 v[114:117], v3, s[2:3] offset:16
	global_load_b128 v[142:145], v2, s[2:3]
	global_load_b128 v[138:141], v2, s[2:3] offset:16
	v_and_b32_e32 v2, 0xffff, v246
	s_mov_b32 s14, 0xe8584caa
	s_mov_b32 s15, 0x3febb67a
	;; [unrolled: 1-line block ×3, first 2 shown]
	s_wait_alu 0xfffe
	s_mov_b32 s10, s14
	v_lshlrev_b32_e32 v232, 4, v2
	ds_load_b128 v[2:5], v232 offset:8160
	ds_load_b128 v[6:9], v232 offset:16320
	;; [unrolled: 1-line block ×11, first 2 shown]
	v_add_co_ci_u32_e64 v175, null, 0, 0, s0
	v_cmp_gt_u16_e64 s0, 51, v246
                                        ; implicit-def: $vgpr168_vgpr169
	s_wait_loadcnt_dscnt 0x909
	v_mul_f64_e32 v[34:35], v[8:9], v[52:53]
	s_wait_loadcnt 0x8
	v_mul_f64_e32 v[30:31], v[4:5], v[128:129]
	v_mul_f64_e32 v[32:33], v[2:3], v[128:129]
	;; [unrolled: 1-line block ×3, first 2 shown]
	s_clause 0x1
	scratch_store_b128 off, v[126:129], off offset:96
	scratch_store_b128 off, v[50:53], off offset:16
	s_wait_loadcnt_dscnt 0x708
	v_mul_f64_e32 v[38:39], v[12:13], v[132:133]
	v_mul_f64_e32 v[76:77], v[10:11], v[132:133]
	s_wait_loadcnt_dscnt 0x607
	v_mul_f64_e32 v[78:79], v[16:17], v[120:121]
	v_mul_f64_e32 v[80:81], v[14:15], v[120:121]
	;; [unrolled: 3-line block ×3, first 2 shown]
	s_wait_loadcnt 0x3
	scratch_store_b128 off, v[54:57], off offset:32 ; 16-byte Folded Spill
	s_wait_dscnt 0x5
	v_mul_f64_e32 v[86:87], v[24:25], v[124:125]
	v_mul_f64_e32 v[88:89], v[22:23], v[124:125]
	s_wait_dscnt 0x4
	v_mul_f64_e32 v[90:91], v[28:29], v[56:57]
	s_wait_loadcnt_dscnt 0x203
	v_mul_f64_e32 v[92:93], v[62:63], v[116:117]
	v_mul_f64_e32 v[94:95], v[26:27], v[56:57]
	;; [unrolled: 1-line block ×3, first 2 shown]
	s_wait_loadcnt_dscnt 0x102
	v_mul_f64_e32 v[98:99], v[66:67], v[144:145]
	s_wait_loadcnt_dscnt 0x1
	v_mul_f64_e32 v[108:109], v[70:71], v[140:141]
	v_mul_f64_e32 v[110:111], v[64:65], v[144:145]
	;; [unrolled: 1-line block ×3, first 2 shown]
	s_clause 0x6
	scratch_store_b128 off, v[130:133], off offset:112
	scratch_store_b128 off, v[134:137], off offset:128
	;; [unrolled: 1-line block ×7, first 2 shown]
	v_fma_f64 v[34:35], v[6:7], v[50:51], -v[34:35]
	v_fma_f64 v[30:31], v[2:3], v[126:127], -v[30:31]
	v_fma_f64 v[32:33], v[4:5], v[126:127], v[32:33]
	v_fma_f64 v[36:37], v[8:9], v[50:51], v[36:37]
	ds_load_b128 v[2:5], v232
	ds_load_b128 v[6:9], v232 offset:1632
	v_fma_f64 v[38:39], v[10:11], v[130:131], -v[38:39]
	v_fma_f64 v[76:77], v[12:13], v[130:131], v[76:77]
	v_fma_f64 v[78:79], v[14:15], v[118:119], -v[78:79]
	v_fma_f64 v[80:81], v[16:17], v[118:119], v[80:81]
	;; [unrolled: 2-line block ×3, first 2 shown]
	ds_load_b128 v[10:13], v232 offset:3264
	ds_load_b128 v[14:17], v232 offset:4896
	v_fma_f64 v[22:23], v[22:23], v[122:123], -v[86:87]
	v_fma_f64 v[24:25], v[24:25], v[122:123], v[88:89]
	v_fma_f64 v[26:27], v[26:27], v[54:55], -v[90:91]
	v_fma_f64 v[60:61], v[60:61], v[114:115], -v[92:93]
	v_fma_f64 v[28:29], v[28:29], v[54:55], v[94:95]
	v_fma_f64 v[62:63], v[62:63], v[114:115], v[96:97]
	v_fma_f64 v[64:65], v[64:65], v[142:143], -v[98:99]
	v_fma_f64 v[68:69], v[68:69], v[138:139], -v[108:109]
	v_fma_f64 v[66:67], v[66:67], v[142:143], v[110:111]
	v_fma_f64 v[70:71], v[70:71], v[138:139], v[112:113]
	global_wb scope:SCOPE_SE
	s_wait_storecnt_dscnt 0x0
	s_barrier_signal -1
	s_barrier_wait -1
	global_inv scope:SCOPE_SE
	v_add_f64_e32 v[82:83], v[30:31], v[34:35]
	v_add_f64_e32 v[110:111], v[2:3], v[30:31]
	;; [unrolled: 1-line block ×3, first 2 shown]
	v_add_f64_e64 v[112:113], v[32:33], -v[36:37]
	v_add_f64_e32 v[32:33], v[4:5], v[32:33]
	v_add_f64_e64 v[30:31], v[30:31], -v[34:35]
	v_add_f64_e32 v[114:115], v[6:7], v[38:39]
	v_add_f64_e32 v[116:117], v[8:9], v[76:77]
	;; [unrolled: 1-line block ×6, first 2 shown]
	v_add_f64_e64 v[76:77], v[76:77], -v[80:81]
	v_add_f64_e32 v[90:91], v[18:19], v[22:23]
	v_add_f64_e32 v[92:93], v[20:21], v[24:25]
	;; [unrolled: 1-line block ×10, first 2 shown]
	v_add_f64_e64 v[38:39], v[38:39], -v[78:79]
	v_add_f64_e64 v[130:131], v[20:21], -v[24:25]
	;; [unrolled: 1-line block ×7, first 2 shown]
	v_fma_f64 v[82:83], v[82:83], -0.5, v[2:3]
	v_add_f64_e32 v[2:3], v[110:111], v[34:35]
	v_fma_f64 v[84:85], v[84:85], -0.5, v[4:5]
	v_mad_u16 v34, v44, 51, v49
	v_add_f64_e32 v[4:5], v[32:33], v[36:37]
	v_mad_u16 v32, v42, 51, v45
	v_mad_u16 v33, v43, 51, v48
	s_delay_alu instid0(VALU_DEP_4)
	v_and_b32_e32 v34, 0xffff, v34
	v_fma_f64 v[86:87], v[86:87], -0.5, v[6:7]
	v_fma_f64 v[88:89], v[88:89], -0.5, v[8:9]
	v_add_f64_e32 v[6:7], v[114:115], v[78:79]
	v_add_f64_e32 v[8:9], v[116:117], v[80:81]
	v_and_b32_e32 v32, 0xffff, v32
	v_fma_f64 v[90:91], v[90:91], -0.5, v[10:11]
	v_fma_f64 v[92:93], v[92:93], -0.5, v[12:13]
	v_add_f64_e32 v[10:11], v[118:119], v[22:23]
	v_fma_f64 v[94:95], v[94:95], -0.5, v[14:15]
	v_add_f64_e32 v[12:13], v[120:121], v[24:25]
	;; [unrolled: 2-line block ×5, first 2 shown]
	v_add_f64_e32 v[110:111], v[128:129], v[70:71]
	v_and_b32_e32 v33, 0xffff, v33
	v_lshlrev_b32_e32 v32, 4, v32
	v_fma_f64 v[18:19], v[112:113], s[14:15], v[82:83]
	s_wait_alu 0xfffe
	v_fma_f64 v[22:23], v[112:113], s[10:11], v[82:83]
	v_fma_f64 v[24:25], v[30:31], s[14:15], v[84:85]
	v_fma_f64 v[20:21], v[30:31], s[10:11], v[84:85]
	v_and_b32_e32 v30, 0xffff, v40
	v_and_b32_e32 v31, 0xffff, v41
	v_fma_f64 v[26:27], v[76:77], s[14:15], v[86:87]
	v_fma_f64 v[60:61], v[76:77], s[10:11], v[86:87]
	;; [unrolled: 1-line block ×4, first 2 shown]
	v_mul_u32_u24_e32 v30, 51, v30
	v_fma_f64 v[68:69], v[130:131], s[10:11], v[90:91]
	v_fma_f64 v[70:71], v[132:133], s[14:15], v[92:93]
	v_fma_f64 v[64:65], v[130:131], s[14:15], v[90:91]
	v_fma_f64 v[76:77], v[134:135], s[10:11], v[94:95]
	v_fma_f64 v[66:67], v[132:133], s[10:11], v[92:93]
	v_fma_f64 v[78:79], v[136:137], s[14:15], v[96:97]
	v_fma_f64 v[72:73], v[134:135], s[14:15], v[94:95]
	v_fma_f64 v[112:113], v[138:139], s[10:11], v[98:99]
	v_fma_f64 v[74:75], v[136:137], s[10:11], v[96:97]
	v_fma_f64 v[114:115], v[140:141], s[14:15], v[142:143]
	v_fma_f64 v[124:125], v[138:139], s[14:15], v[98:99]
	v_fma_f64 v[126:127], v[140:141], s[10:11], v[142:143]
	v_mul_u32_u24_e32 v31, 51, v31
	v_add_lshl_u32 v36, v30, v46, 4
	v_lshlrev_b32_e32 v30, 4, v34
	ds_store_b128 v36, v[2:5]
	ds_store_b128 v36, v[18:21] offset:272
	v_add_lshl_u32 v35, v31, v47, 4
	v_lshlrev_b32_e32 v31, 4, v33
	scratch_store_b32 off, v36, off offset:192 ; 4-byte Folded Spill
	ds_store_b128 v36, v[22:25] offset:544
	ds_store_b128 v35, v[6:9]
	ds_store_b128 v35, v[26:29] offset:272
	scratch_store_b32 off, v35, off offset:188 ; 4-byte Folded Spill
	ds_store_b128 v35, v[60:63] offset:544
	ds_store_b128 v32, v[10:13]
	ds_store_b128 v32, v[64:67] offset:272
	scratch_store_b32 off, v32, off offset:184 ; 4-byte Folded Spill
	ds_store_b128 v32, v[68:71] offset:544
	ds_store_b128 v31, v[14:17]
	ds_store_b128 v31, v[72:75] offset:272
	scratch_store_b32 off, v31, off offset:180 ; 4-byte Folded Spill
	ds_store_b128 v31, v[76:79] offset:544
	ds_store_b128 v30, v[108:111]
	ds_store_b128 v30, v[124:127] offset:272
	scratch_store_b32 off, v30, off offset:176 ; 4-byte Folded Spill
	ds_store_b128 v30, v[112:115] offset:544
	global_wb scope:SCOPE_SE
	s_wait_storecnt_dscnt 0x0
	s_barrier_signal -1
	s_barrier_wait -1
	global_inv scope:SCOPE_SE
	ds_load_b128 v[120:123], v232
	ds_load_b128 v[116:119], v232 offset:1632
	ds_load_b128 v[148:151], v232 offset:4080
	;; [unrolled: 1-line block ×11, first 2 shown]
	s_and_saveexec_b32 s1, s0
	s_cbranch_execz .LBB0_9
; %bb.8:
	ds_load_b128 v[108:111], v232 offset:3264
	ds_load_b128 v[124:127], v232 offset:7344
	;; [unrolled: 1-line block ×6, first 2 shown]
.LBB0_9:
	s_wait_alu 0xfffe
	s_or_b32 exec_lo, exec_lo, s1
	v_mul_lo_u16 v1, 0xa1, v1
	v_mul_u32_u24_e32 v0, 0xa0a1, v0
	s_delay_alu instid0(VALU_DEP_2) | instskip(SKIP_1) | instid1(VALU_DEP_3)
	v_lshrrev_b16 v40, 13, v1
	v_subrev_nc_u32_e32 v1, 51, v246
	v_lshrrev_b32_e32 v0, 21, v0
	s_delay_alu instid0(VALU_DEP_3) | instskip(NEXT) | instid1(VALU_DEP_3)
	v_mul_lo_u16 v2, v40, 51
	v_cndmask_b32_e64 v41, v1, v246, s0
	s_delay_alu instid0(VALU_DEP_3) | instskip(NEXT) | instid1(VALU_DEP_3)
	v_mul_lo_u16 v0, v0, 51
	v_sub_nc_u16 v1, v172, v2
	s_delay_alu instid0(VALU_DEP_3) | instskip(SKIP_1) | instid1(VALU_DEP_4)
	v_mul_i32_i24_e32 v2, 0x50, v41
	v_mul_hi_i32_i24_e32 v3, 0x50, v41
	v_sub_nc_u16 v24, v174, v0
	s_delay_alu instid0(VALU_DEP_4) | instskip(NEXT) | instid1(VALU_DEP_4)
	v_and_b32_e32 v25, 0xff, v1
	v_add_co_u32 v0, s1, s2, v2
	s_wait_alu 0xf1ff
	v_add_co_ci_u32_e64 v1, s1, s3, v3, s1
	s_delay_alu instid0(VALU_DEP_3)
	v_mad_co_u64_u32 v[2:3], null, 0x50, v25, s[2:3]
	v_mul_lo_u16 v4, 0x50, v24
	s_clause 0x1
	global_load_b128 v[30:33], v[0:1], off offset:576
	global_load_b128 v[78:81], v[0:1], off offset:608
	v_and_b32_e32 v24, 0xffff, v24
	s_clause 0x1
	global_load_b128 v[34:37], v[2:3], off offset:576
	global_load_b128 v[74:77], v[2:3], off offset:608
	v_and_b32_e32 v4, 0xffff, v4
	s_delay_alu instid0(VALU_DEP_1)
	v_add_co_u32 v4, s1, s2, v4
	s_wait_alu 0xf1ff
	v_add_co_ci_u32_e64 v5, null, s3, 0, s1
	s_clause 0xa
	global_load_b128 v[88:91], v[4:5], off offset:576
	global_load_b128 v[96:99], v[4:5], off offset:608
	;; [unrolled: 1-line block ×11, first 2 shown]
	v_cmp_lt_u16_e64 s1, 50, v246
	scratch_store_b32 off, v24, off offset:356 ; 4-byte Folded Spill
	s_wait_loadcnt_dscnt 0xe05
	v_mul_f64_e32 v[0:1], v[162:163], v[32:33]
	v_mul_f64_e32 v[2:3], v[160:161], v[32:33]
	s_wait_loadcnt_dscnt 0xd01
	v_mul_f64_e32 v[4:5], v[164:165], v[80:81]
	v_mul_f64_e32 v[6:7], v[166:167], v[80:81]
	scratch_store_b128 off, v[30:33], off offset:324 ; 16-byte Folded Spill
	s_wait_loadcnt 0xc
	v_mul_f64_e32 v[8:9], v[154:155], v[36:37]
	s_wait_loadcnt 0xb
	scratch_store_b128 off, v[74:77], off offset:308 ; 16-byte Folded Spill
	v_mul_f64_e32 v[10:11], v[152:153], v[36:37]
	s_wait_dscnt 0x0
	v_mul_f64_e32 v[12:13], v[156:157], v[76:77]
	v_mul_f64_e32 v[14:15], v[158:159], v[76:77]
	s_wait_loadcnt 0xa
	v_mul_f64_e32 v[16:17], v[106:107], v[90:91]
	v_mul_f64_e32 v[18:19], v[104:105], v[90:91]
	s_wait_loadcnt 0x9
	;; [unrolled: 3-line block ×4, first 2 shown]
	v_mul_f64_e32 v[32:33], v[144:145], v[52:53]
	scratch_store_b128 off, v[34:37], off offset:292 ; 16-byte Folded Spill
	s_wait_loadcnt 0x5
	scratch_store_b128 off, v[70:73], off offset:276 ; 16-byte Folded Spill
	v_mul_f64_e32 v[36:37], v[124:125], v[94:95]
	v_mul_f64_e32 v[38:39], v[138:139], v[72:73]
	s_clause 0x1
	scratch_store_b128 off, v[78:81], off offset:340
	scratch_store_b128 off, v[58:61], off offset:228
	s_wait_loadcnt 0x2
	s_clause 0x2
	scratch_store_b128 off, v[54:57], off offset:212
	scratch_store_b128 off, v[66:69], off offset:260
	;; [unrolled: 1-line block ×3, first 2 shown]
	s_wait_loadcnt 0x1
	scratch_store_b128 off, v[46:49], off offset:400 ; 16-byte Folded Spill
	s_wait_loadcnt 0x0
	scratch_store_b128 off, v[42:45], off offset:384 ; 16-byte Folded Spill
	v_fma_f64 v[0:1], v[160:161], v[30:31], -v[0:1]
	v_fma_f64 v[2:3], v[162:163], v[30:31], v[2:3]
	v_fma_f64 v[4:5], v[166:167], v[78:79], v[4:5]
	v_fma_f64 v[6:7], v[164:165], v[78:79], -v[6:7]
	v_mul_f64_e32 v[30:31], v[146:147], v[52:53]
	v_fma_f64 v[8:9], v[152:153], v[34:35], -v[8:9]
	v_mul_f64_e32 v[152:153], v[140:141], v[68:69]
	v_fma_f64 v[10:11], v[154:155], v[34:35], v[10:11]
	v_fma_f64 v[12:13], v[158:159], v[74:75], v[12:13]
	v_fma_f64 v[14:15], v[156:157], v[74:75], -v[14:15]
	v_mul_f64_e32 v[34:35], v[126:127], v[94:95]
	v_fma_f64 v[16:17], v[104:105], v[88:89], -v[16:17]
	v_fma_f64 v[18:19], v[106:107], v[88:89], v[18:19]
	v_fma_f64 v[20:21], v[170:171], v[96:97], v[20:21]
	v_fma_f64 v[22:23], v[168:169], v[96:97], -v[22:23]
	v_mul_f64_e32 v[104:105], v[136:137], v[72:73]
	v_mul_f64_e32 v[106:107], v[142:143], v[68:69]
	v_fma_f64 v[26:27], v[148:149], v[58:59], -v[26:27]
	v_fma_f64 v[28:29], v[150:151], v[58:59], v[28:29]
	v_mul_f64_e32 v[154:155], v[130:131], v[64:65]
	v_mul_f64_e32 v[156:157], v[128:129], v[64:65]
	v_fma_f64 v[32:33], v[146:147], v[50:51], v[32:33]
	v_mul_f64_e32 v[162:163], v[114:115], v[48:49]
	v_mul_f64_e32 v[164:165], v[112:113], v[48:49]
	;; [unrolled: 1-line block ×4, first 2 shown]
	v_fma_f64 v[36:37], v[126:127], v[92:93], v[36:37]
	v_mul_f64_e32 v[158:159], v[134:135], v[56:57]
	v_mul_f64_e32 v[160:161], v[132:133], v[56:57]
	v_fma_f64 v[38:39], v[136:137], v[70:71], -v[38:39]
	v_add_f64_e32 v[148:149], v[2:3], v[4:5]
	v_add_f64_e32 v[150:151], v[0:1], v[6:7]
	v_fma_f64 v[30:31], v[144:145], v[50:51], -v[30:31]
	v_fma_f64 v[136:137], v[142:143], v[66:67], v[152:153]
	v_add_f64_e32 v[144:145], v[10:11], v[12:13]
	v_add_f64_e32 v[146:147], v[8:9], v[14:15]
	v_fma_f64 v[34:35], v[124:125], v[92:93], -v[34:35]
	v_add_f64_e64 v[152:153], v[8:9], -v[14:15]
	v_add_f64_e32 v[124:125], v[18:19], v[20:21]
	v_add_f64_e32 v[126:127], v[16:17], v[22:23]
	v_fma_f64 v[104:105], v[138:139], v[70:71], v[104:105]
	v_fma_f64 v[106:107], v[140:141], v[66:67], -v[106:107]
	v_add_f64_e64 v[138:139], v[2:3], -v[4:5]
	v_add_f64_e64 v[140:141], v[0:1], -v[6:7]
	v_fma_f64 v[128:129], v[128:129], v[62:63], -v[154:155]
	v_fma_f64 v[130:131], v[130:131], v[62:63], v[156:157]
	v_add_f64_e64 v[154:155], v[18:19], -v[20:21]
	v_fma_f64 v[112:113], v[112:113], v[46:47], -v[162:163]
	v_fma_f64 v[114:115], v[114:115], v[46:47], v[164:165]
	v_fma_f64 v[100:101], v[100:101], v[42:43], -v[166:167]
	v_fma_f64 v[102:103], v[102:103], v[42:43], v[168:169]
	v_add_f64_e64 v[156:157], v[16:17], -v[22:23]
	v_fma_f64 v[132:133], v[132:133], v[54:55], -v[158:159]
	v_fma_f64 v[134:135], v[134:135], v[54:55], v[160:161]
	v_add_f64_e32 v[0:1], v[26:27], v[0:1]
	v_add_f64_e32 v[2:3], v[28:29], v[2:3]
	;; [unrolled: 1-line block ×3, first 2 shown]
	v_fma_f64 v[142:143], v[148:149], -0.5, v[28:29]
	v_fma_f64 v[148:149], v[150:151], -0.5, v[26:27]
	v_add_f64_e64 v[150:151], v[10:11], -v[12:13]
	v_add_f64_e32 v[8:9], v[30:31], v[8:9]
	v_add_f64_e32 v[10:11], v[32:33], v[10:11]
	v_fma_f64 v[144:145], v[144:145], -0.5, v[32:33]
	v_fma_f64 v[146:147], v[146:147], -0.5, v[30:31]
	v_add_f64_e32 v[16:17], v[34:35], v[16:17]
	v_fma_f64 v[124:125], v[124:125], -0.5, v[36:37]
	v_fma_f64 v[126:127], v[126:127], -0.5, v[34:35]
	v_add_f64_e32 v[160:161], v[104:105], v[136:137]
	v_add_f64_e32 v[158:159], v[38:39], v[106:107]
	v_add_f64_e64 v[36:37], v[38:39], -v[106:107]
	v_add_f64_e32 v[26:27], v[116:117], v[128:129]
	v_add_f64_e32 v[28:29], v[118:119], v[130:131]
	;; [unrolled: 1-line block ×4, first 2 shown]
	v_fma_f64 v[162:163], v[140:141], s[10:11], v[142:143]
	v_fma_f64 v[164:165], v[138:139], s[10:11], v[148:149]
	;; [unrolled: 1-line block ×4, first 2 shown]
	v_add_f64_e32 v[142:143], v[128:129], v[132:133]
	v_add_f64_e32 v[148:149], v[130:131], v[134:135]
	v_fma_f64 v[166:167], v[152:153], s[10:11], v[144:145]
	v_fma_f64 v[168:169], v[150:151], s[10:11], v[146:147]
	;; [unrolled: 1-line block ×4, first 2 shown]
	v_add_f64_e32 v[150:151], v[112:113], v[100:101]
	v_add_f64_e32 v[152:153], v[114:115], v[102:103]
	v_fma_f64 v[170:171], v[156:157], s[10:11], v[124:125]
	v_fma_f64 v[176:177], v[154:155], s[10:11], v[126:127]
	;; [unrolled: 1-line block ×4, first 2 shown]
	v_add_f64_e32 v[154:155], v[120:121], v[38:39]
	v_add_f64_e64 v[156:157], v[104:105], -v[136:137]
	v_add_f64_e32 v[104:105], v[122:123], v[104:105]
	v_fma_f64 v[34:35], v[158:159], -0.5, v[120:121]
	v_fma_f64 v[38:39], v[160:161], -0.5, v[122:123]
	v_add_f64_e64 v[120:121], v[130:131], -v[134:135]
	v_add_f64_e64 v[114:115], v[114:115], -v[102:103]
	;; [unrolled: 1-line block ×4, first 2 shown]
	v_add_f64_e32 v[186:187], v[8:9], v[14:15]
	v_add_f64_e32 v[188:189], v[10:11], v[12:13]
	;; [unrolled: 1-line block ×4, first 2 shown]
	v_mul_f64_e32 v[122:123], s[14:15], v[162:163]
	v_mul_f64_e32 v[130:131], -0.5, v[164:165]
	v_mul_f64_e32 v[158:159], s[10:11], v[138:139]
	v_mul_f64_e32 v[160:161], -0.5, v[140:141]
	v_fma_f64 v[116:117], v[142:143], -0.5, v[116:117]
	v_fma_f64 v[118:119], v[148:149], -0.5, v[118:119]
	v_mul_f64_e32 v[142:143], s[14:15], v[166:167]
	v_mul_f64_e32 v[148:149], -0.5, v[168:169]
	v_mul_f64_e32 v[178:179], s[10:11], v[146:147]
	v_mul_f64_e32 v[180:181], -0.5, v[144:145]
	v_fma_f64 v[108:109], v[150:151], -0.5, v[108:109]
	v_fma_f64 v[110:111], v[152:153], -0.5, v[110:111]
	v_mul_f64_e32 v[150:151], s[14:15], v[170:171]
	v_mul_f64_e32 v[152:153], -0.5, v[176:177]
	v_mul_f64_e32 v[184:185], -0.5, v[124:125]
	v_mul_f64_e32 v[182:183], s[10:11], v[126:127]
	v_add_f64_e32 v[106:107], v[154:155], v[106:107]
	v_add_f64_e32 v[154:155], v[2:3], v[4:5]
	;; [unrolled: 1-line block ×8, first 2 shown]
	v_fma_f64 v[30:31], v[156:157], s[14:15], v[34:35]
	v_fma_f64 v[32:33], v[156:157], s[10:11], v[34:35]
	;; [unrolled: 1-line block ×4, first 2 shown]
	v_fma_f64 v[38:39], v[138:139], 0.5, v[122:123]
	v_fma_f64 v[122:123], v[140:141], s[14:15], v[130:131]
	v_fma_f64 v[130:131], v[162:163], 0.5, v[158:159]
	v_fma_f64 v[138:139], v[164:165], s[10:11], v[160:161]
	v_fma_f64 v[140:141], v[120:121], s[14:15], v[116:117]
	;; [unrolled: 1-line block ×5, first 2 shown]
	v_fma_f64 v[142:143], v[146:147], 0.5, v[142:143]
	v_fma_f64 v[144:145], v[144:145], s[14:15], v[148:149]
	v_fma_f64 v[10:11], v[114:115], s[10:11], v[108:109]
	;; [unrolled: 1-line block ×3, first 2 shown]
	v_fma_f64 v[146:147], v[166:167], 0.5, v[178:179]
	v_fma_f64 v[14:15], v[124:125], s[14:15], v[152:153]
	v_fma_f64 v[22:23], v[176:177], s[10:11], v[184:185]
	;; [unrolled: 1-line block ×5, first 2 shown]
	v_fma_f64 v[12:13], v[126:127], 0.5, v[150:151]
	v_fma_f64 v[20:21], v[170:171], 0.5, v[182:183]
	v_add_f64_e32 v[26:27], v[106:107], v[136:137]
	v_add_f64_e32 v[28:29], v[104:105], v[154:155]
	v_add_f64_e64 v[100:101], v[106:107], -v[136:137]
	v_add_f64_e64 v[102:103], v[104:105], -v[154:155]
	v_add_f64_e32 v[104:105], v[132:133], v[186:187]
	v_add_f64_e64 v[108:109], v[132:133], -v[186:187]
	v_add_f64_e64 v[152:153], v[0:1], -v[2:3]
	;; [unrolled: 1-line block ×3, first 2 shown]
	v_add_f64_e32 v[106:107], v[134:135], v[188:189]
	v_add_f64_e64 v[110:111], v[134:135], -v[188:189]
	v_add_f64_e32 v[112:113], v[30:31], v[38:39]
	v_add_f64_e32 v[116:117], v[32:33], v[122:123]
	v_add_f64_e64 v[120:121], v[30:31], -v[38:39]
	v_add_f64_e64 v[124:125], v[32:33], -v[122:123]
	v_add_f64_e32 v[114:115], v[34:35], v[130:131]
	v_add_f64_e32 v[118:119], v[36:37], v[138:139]
	v_add_f64_e64 v[122:123], v[34:35], -v[130:131]
	;; [unrolled: 4-line block ×3, first 2 shown]
	v_add_f64_e64 v[140:141], v[156:157], -v[144:145]
	v_add_f64_e32 v[130:131], v[158:159], v[146:147]
	v_add_f64_e64 v[30:31], v[10:11], -v[14:15]
	v_add_f64_e64 v[32:33], v[18:19], -v[22:23]
	;; [unrolled: 1-line block ×4, first 2 shown]
	v_add_f64_e32 v[134:135], v[160:161], v[148:149]
	v_add_f64_e64 v[156:157], v[8:9], -v[12:13]
	v_add_f64_e64 v[158:159], v[16:17], -v[20:21]
	s_clause 0x1
	scratch_store_b128 off, v[50:53], off offset:196
	scratch_store_b128 off, v[30:33], off
	v_and_b32_e32 v30, 0xffff, v40
	s_wait_alu 0xf1ff
	v_cndmask_b32_e64 v31, 0, 0x132, s1
	global_wb scope:SCOPE_SE
	s_wait_storecnt 0x0
	s_barrier_signal -1
	s_barrier_wait -1
	v_mul_u32_u24_e32 v30, 0x132, v30
	v_add_lshl_u32 v31, v41, v31, 4
	global_inv scope:SCOPE_SE
	ds_store_b128 v31, v[26:29]
	ds_store_b128 v31, v[112:115] offset:816
	ds_store_b128 v31, v[116:119] offset:1632
	ds_store_b128 v31, v[100:103] offset:2448
	ds_store_b128 v31, v[120:123] offset:3264
	v_add_lshl_u32 v24, v30, v25, 4
	scratch_store_b32 off, v31, off offset:376 ; 4-byte Folded Spill
	ds_store_b128 v31, v[124:127] offset:4080
	ds_store_b128 v24, v[104:107]
	ds_store_b128 v24, v[128:131] offset:816
	ds_store_b128 v24, v[132:135] offset:1632
	;; [unrolled: 1-line block ×4, first 2 shown]
	scratch_store_b32 off, v24, off offset:380 ; 4-byte Folded Spill
	ds_store_b128 v24, v[140:143] offset:4080
	s_and_saveexec_b32 s1, s0
	s_cbranch_execz .LBB0_11
; %bb.10:
	v_add_f64_e32 v[2:3], v[0:1], v[2:3]
	scratch_load_b32 v0, off, off offset:356 ; 4-byte Folded Reload
	v_add_f64_e32 v[4:5], v[4:5], v[6:7]
	v_add_f64_e32 v[18:19], v[18:19], v[22:23]
	v_add_f64_e32 v[22:23], v[16:17], v[20:21]
	v_add_f64_e32 v[20:21], v[8:9], v[12:13]
	v_add_f64_e32 v[16:17], v[10:11], v[14:15]
	s_wait_loadcnt 0x0
	v_lshlrev_b32_e32 v0, 4, v0
	ds_store_b128 v0, v[2:5] offset:19584
	ds_store_b128 v0, v[20:23] offset:20400
	;; [unrolled: 1-line block ×5, first 2 shown]
	scratch_load_b128 v[1:4], off, off      ; 16-byte Folded Reload
	s_wait_loadcnt 0x0
	ds_store_b128 v0, v[1:4] offset:23664
.LBB0_11:
	s_wait_alu 0xfffe
	s_or_b32 exec_lo, exec_lo, s1
	v_lshlrev_b32_e32 v0, 6, v246
	global_wb scope:SCOPE_SE
	s_wait_storecnt_dscnt 0x0
	s_barrier_signal -1
	s_barrier_wait -1
	global_inv scope:SCOPE_SE
	s_clause 0x3
	global_load_b128 v[18:21], v0, s[2:3] offset:4624
	global_load_b128 v[104:107], v0, s[2:3] offset:4640
	;; [unrolled: 1-line block ×4, first 2 shown]
	ds_load_b128 v[120:123], v232 offset:4896
	ds_load_b128 v[0:3], v232 offset:3264
	ds_load_b128 v[4:7], v232 offset:9792
	ds_load_b128 v[8:11], v232 offset:11424
	s_mov_b32 s14, 0x134454ff
	s_mov_b32 s15, 0x3fee6f0e
	s_mov_b32 s17, 0xbfee6f0e
	s_wait_alu 0xfffe
	s_mov_b32 s16, s14
	s_mov_b32 s11, 0xbfe2cf23
	;; [unrolled: 1-line block ×4, first 2 shown]
	s_wait_loadcnt_dscnt 0x303
	v_mul_f64_e32 v[12:13], v[122:123], v[20:21]
	v_mul_f64_e32 v[14:15], v[120:121], v[20:21]
	s_wait_loadcnt_dscnt 0x201
	v_mul_f64_e32 v[16:17], v[6:7], v[106:107]
	scratch_store_b128 off, v[18:21], off offset:360 ; 16-byte Folded Spill
	v_fma_f64 v[24:25], v[120:121], v[18:19], -v[12:13]
	v_mul_f64_e32 v[12:13], v[4:5], v[106:107]
	v_fma_f64 v[26:27], v[122:123], v[18:19], v[14:15]
	v_fma_f64 v[28:29], v[4:5], v[104:105], -v[16:17]
	s_delay_alu instid0(VALU_DEP_3) | instskip(SKIP_4) | instid1(VALU_DEP_1)
	v_fma_f64 v[30:31], v[6:7], v[104:105], v[12:13]
	ds_load_b128 v[4:7], v232 offset:14688
	ds_load_b128 v[12:15], v232 offset:13056
	s_wait_loadcnt_dscnt 0x101
	v_mul_f64_e32 v[16:17], v[6:7], v[114:115]
	v_fma_f64 v[32:33], v[4:5], v[112:113], -v[16:17]
	v_mul_f64_e32 v[4:5], v[4:5], v[114:115]
	s_delay_alu instid0(VALU_DEP_2) | instskip(NEXT) | instid1(VALU_DEP_2)
	v_add_f64_e64 v[194:195], v[28:29], -v[32:33]
	v_fma_f64 v[34:35], v[6:7], v[112:113], v[4:5]
	ds_load_b128 v[4:7], v232 offset:19584
	ds_load_b128 v[16:19], v232 offset:21216
	s_wait_loadcnt_dscnt 0x1
	v_mul_f64_e32 v[20:21], v[6:7], v[118:119]
	v_add_f64_e32 v[180:181], v[30:31], v[34:35]
	v_add_f64_e64 v[190:191], v[30:31], -v[34:35]
	s_delay_alu instid0(VALU_DEP_3) | instskip(SKIP_1) | instid1(VALU_DEP_2)
	v_fma_f64 v[36:37], v[4:5], v[116:117], -v[20:21]
	v_mul_f64_e32 v[4:5], v[4:5], v[118:119]
	v_add_f64_e64 v[192:193], v[24:25], -v[36:37]
	s_delay_alu instid0(VALU_DEP_2) | instskip(SKIP_1) | instid1(VALU_DEP_1)
	v_fma_f64 v[38:39], v[6:7], v[116:117], v[4:5]
	v_lshlrev_b64_e32 v[4:5], 6, v[172:173]
	v_add_co_u32 v108, s1, s2, v4
	s_wait_alu 0xf1ff
	s_delay_alu instid0(VALU_DEP_2)
	v_add_co_ci_u32_e64 v109, s1, s3, v5, s1
	s_clause 0x1
	global_load_b128 v[124:127], v[108:109], off offset:4624
	global_load_b128 v[120:123], v[108:109], off offset:4640
	ds_load_b128 v[4:7], v232 offset:6528
	ds_load_b128 v[20:23], v232 offset:8160
	s_clause 0x1
	global_load_b128 v[132:135], v[108:109], off offset:4656
	global_load_b128 v[128:131], v[108:109], off offset:4672
	v_add_f64_e64 v[188:189], v[26:27], -v[38:39]
	s_wait_loadcnt_dscnt 0x301
	v_mul_f64_e32 v[110:111], v[6:7], v[126:127]
	s_delay_alu instid0(VALU_DEP_1) | instskip(SKIP_1) | instid1(VALU_DEP_1)
	v_fma_f64 v[110:111], v[4:5], v[124:125], -v[110:111]
	v_mul_f64_e32 v[4:5], v[4:5], v[126:127]
	v_fma_f64 v[164:165], v[6:7], v[124:125], v[4:5]
	s_wait_loadcnt 0x2
	v_mul_f64_e32 v[4:5], v[10:11], v[122:123]
	s_delay_alu instid0(VALU_DEP_1) | instskip(SKIP_1) | instid1(VALU_DEP_1)
	v_fma_f64 v[166:167], v[8:9], v[120:121], -v[4:5]
	v_mul_f64_e32 v[4:5], v[8:9], v[122:123]
	v_fma_f64 v[168:169], v[10:11], v[120:121], v[4:5]
	ds_load_b128 v[4:7], v232 offset:16320
	ds_load_b128 v[8:11], v232 offset:17952
	s_wait_loadcnt_dscnt 0x101
	v_mul_f64_e32 v[108:109], v[6:7], v[134:135]
	s_delay_alu instid0(VALU_DEP_1) | instskip(SKIP_1) | instid1(VALU_DEP_1)
	v_fma_f64 v[108:109], v[4:5], v[132:133], -v[108:109]
	v_mul_f64_e32 v[4:5], v[4:5], v[134:135]
	v_fma_f64 v[170:171], v[6:7], v[132:133], v[4:5]
	s_wait_loadcnt 0x0
	v_mul_f64_e32 v[4:5], v[18:19], v[130:131]
	s_delay_alu instid0(VALU_DEP_1) | instskip(SKIP_1) | instid1(VALU_DEP_1)
	v_fma_f64 v[172:173], v[16:17], v[128:129], -v[4:5]
	v_mul_f64_e32 v[4:5], v[16:17], v[130:131]
	v_fma_f64 v[16:17], v[18:19], v[128:129], v[4:5]
	v_lshlrev_b64_e32 v[4:5], 6, v[174:175]
	v_add_f64_e32 v[174:175], v[28:29], v[32:33]
	s_delay_alu instid0(VALU_DEP_2) | instskip(SKIP_1) | instid1(VALU_DEP_3)
	v_add_co_u32 v4, s1, s2, v4
	s_wait_alu 0xf1ff
	v_add_co_ci_u32_e64 v5, s1, s3, v5, s1
	s_clause 0x3
	global_load_b128 v[140:143], v[4:5], off offset:4624
	global_load_b128 v[136:139], v[4:5], off offset:4640
	;; [unrolled: 1-line block ×4, first 2 shown]
	s_mov_b32 s2, 0x4755a5e
	s_mov_b32 s3, 0x3fe2cf23
	s_wait_alu 0xfffe
	s_mov_b32 s10, s2
	s_wait_loadcnt 0x3
	v_mul_f64_e32 v[6:7], v[22:23], v[142:143]
	s_wait_loadcnt_dscnt 0x100
	v_mul_f64_e32 v[4:5], v[10:11], v[150:151]
	s_delay_alu instid0(VALU_DEP_2) | instskip(SKIP_1) | instid1(VALU_DEP_1)
	v_fma_f64 v[18:19], v[20:21], v[140:141], -v[6:7]
	v_mul_f64_e32 v[6:7], v[20:21], v[142:143]
	v_fma_f64 v[20:21], v[22:23], v[140:141], v[6:7]
	v_mul_f64_e32 v[6:7], v[14:15], v[138:139]
	s_delay_alu instid0(VALU_DEP_1) | instskip(SKIP_1) | instid1(VALU_DEP_1)
	v_fma_f64 v[22:23], v[12:13], v[136:137], -v[6:7]
	v_mul_f64_e32 v[6:7], v[12:13], v[138:139]
	v_fma_f64 v[12:13], v[14:15], v[136:137], v[6:7]
	v_fma_f64 v[14:15], v[8:9], v[148:149], -v[4:5]
	v_mul_f64_e32 v[4:5], v[8:9], v[150:151]
	s_delay_alu instid0(VALU_DEP_1) | instskip(SKIP_3) | instid1(VALU_DEP_1)
	v_fma_f64 v[176:177], v[10:11], v[148:149], v[4:5]
	ds_load_b128 v[4:7], v232 offset:22848
	s_wait_loadcnt_dscnt 0x0
	v_mul_f64_e32 v[8:9], v[6:7], v[146:147]
	v_fma_f64 v[178:179], v[4:5], v[144:145], -v[8:9]
	v_mul_f64_e32 v[4:5], v[4:5], v[146:147]
	s_delay_alu instid0(VALU_DEP_1) | instskip(SKIP_2) | instid1(VALU_DEP_1)
	v_fma_f64 v[220:221], v[6:7], v[144:145], v[4:5]
	v_add_f64_e64 v[4:5], v[24:25], -v[28:29]
	v_add_f64_e64 v[6:7], v[36:37], -v[32:33]
	v_add_f64_e32 v[160:161], v[4:5], v[6:7]
	v_add_f64_e64 v[4:5], v[26:27], -v[30:31]
	v_add_f64_e64 v[6:7], v[38:39], -v[34:35]
	s_delay_alu instid0(VALU_DEP_1)
	v_add_f64_e32 v[162:163], v[4:5], v[6:7]
	ds_load_b128 v[4:7], v232
	ds_load_b128 v[8:11], v232 offset:1632
	s_wait_dscnt 0x1
	v_fma_f64 v[174:175], v[174:175], -0.5, v[4:5]
	v_fma_f64 v[184:185], v[180:181], -0.5, v[6:7]
	s_delay_alu instid0(VALU_DEP_2) | instskip(SKIP_1) | instid1(VALU_DEP_3)
	v_fma_f64 v[180:181], v[188:189], s[14:15], v[174:175]
	v_fma_f64 v[174:175], v[188:189], s[16:17], v[174:175]
	v_fma_f64 v[182:183], v[192:193], s[16:17], v[184:185]
	v_fma_f64 v[184:185], v[192:193], s[14:15], v[184:185]
	s_delay_alu instid0(VALU_DEP_4) | instskip(SKIP_1) | instid1(VALU_DEP_4)
	v_fma_f64 v[180:181], v[190:191], s[2:3], v[180:181]
	s_wait_alu 0xfffe
	v_fma_f64 v[174:175], v[190:191], s[10:11], v[174:175]
	s_delay_alu instid0(VALU_DEP_4) | instskip(NEXT) | instid1(VALU_DEP_4)
	v_fma_f64 v[182:183], v[194:195], s[10:11], v[182:183]
	v_fma_f64 v[186:187], v[194:195], s[2:3], v[184:185]
	s_delay_alu instid0(VALU_DEP_4) | instskip(NEXT) | instid1(VALU_DEP_4)
	v_fma_f64 v[180:181], v[160:161], s[18:19], v[180:181]
	v_fma_f64 v[184:185], v[160:161], s[18:19], v[174:175]
	v_add_f64_e32 v[160:161], v[24:25], v[36:37]
	v_fma_f64 v[182:183], v[162:163], s[18:19], v[182:183]
	v_fma_f64 v[186:187], v[162:163], s[18:19], v[186:187]
	s_delay_alu instid0(VALU_DEP_3) | instskip(SKIP_3) | instid1(VALU_DEP_3)
	v_fma_f64 v[174:175], v[160:161], -0.5, v[4:5]
	v_add_f64_e32 v[160:161], v[26:27], v[38:39]
	v_add_f64_e32 v[4:5], v[4:5], v[24:25]
	v_add_f64_e64 v[24:25], v[28:29], -v[24:25]
	v_fma_f64 v[196:197], v[160:161], -0.5, v[6:7]
	v_add_f64_e32 v[6:7], v[6:7], v[26:27]
	s_delay_alu instid0(VALU_DEP_4) | instskip(SKIP_2) | instid1(VALU_DEP_4)
	v_add_f64_e32 v[4:5], v[4:5], v[28:29]
	v_add_f64_e64 v[26:27], v[30:31], -v[26:27]
	v_add_f64_e64 v[28:29], v[32:33], -v[36:37]
	v_add_f64_e32 v[6:7], v[6:7], v[30:31]
	s_delay_alu instid0(VALU_DEP_4)
	v_add_f64_e32 v[4:5], v[4:5], v[32:33]
	v_fma_f64 v[30:31], v[190:191], s[14:15], v[174:175]
	v_fma_f64 v[32:33], v[194:195], s[14:15], v[196:197]
	v_add_f64_e32 v[24:25], v[24:25], v[28:29]
	v_add_f64_e32 v[6:7], v[6:7], v[34:35]
	;; [unrolled: 1-line block ×3, first 2 shown]
	v_add_f64_e64 v[4:5], v[34:35], -v[38:39]
	v_fma_f64 v[34:35], v[194:195], s[16:17], v[196:197]
	v_fma_f64 v[28:29], v[192:193], s[10:11], v[32:33]
	v_add_f64_e64 v[36:37], v[166:167], -v[108:109]
	v_add_f64_e32 v[162:163], v[6:7], v[38:39]
	v_fma_f64 v[6:7], v[190:191], s[16:17], v[174:175]
	v_add_f64_e32 v[4:5], v[26:27], v[4:5]
	v_fma_f64 v[26:27], v[188:189], s[10:11], v[30:31]
	v_fma_f64 v[30:31], v[192:193], s[2:3], v[34:35]
	v_add_f64_e64 v[34:35], v[110:111], -v[172:173]
	v_fma_f64 v[6:7], v[188:189], s[2:3], v[6:7]
	v_fma_f64 v[190:191], v[4:5], s[18:19], v[28:29]
	;; [unrolled: 1-line block ×4, first 2 shown]
	v_add_f64_e64 v[4:5], v[110:111], -v[166:167]
	v_add_f64_e32 v[26:27], v[168:169], v[170:171]
	v_add_f64_e64 v[28:29], v[164:165], -v[16:17]
	v_add_f64_e64 v[30:31], v[168:169], -v[170:171]
	v_fma_f64 v[188:189], v[24:25], s[18:19], v[6:7]
	v_add_f64_e64 v[6:7], v[172:173], -v[108:109]
	v_add_f64_e64 v[24:25], v[16:17], -v[170:171]
	s_wait_dscnt 0x0
	v_fma_f64 v[26:27], v[26:27], -0.5, v[10:11]
	s_delay_alu instid0(VALU_DEP_3) | instskip(SKIP_1) | instid1(VALU_DEP_3)
	v_add_f64_e32 v[4:5], v[4:5], v[6:7]
	v_add_f64_e64 v[6:7], v[164:165], -v[168:169]
	v_fma_f64 v[38:39], v[34:35], s[16:17], v[26:27]
	v_fma_f64 v[26:27], v[34:35], s[14:15], v[26:27]
	s_delay_alu instid0(VALU_DEP_3) | instskip(SKIP_1) | instid1(VALU_DEP_4)
	v_add_f64_e32 v[6:7], v[6:7], v[24:25]
	v_add_f64_e32 v[24:25], v[166:167], v[108:109]
	v_fma_f64 v[38:39], v[36:37], s[10:11], v[38:39]
	s_delay_alu instid0(VALU_DEP_4) | instskip(NEXT) | instid1(VALU_DEP_3)
	v_fma_f64 v[26:27], v[36:37], s[2:3], v[26:27]
	v_fma_f64 v[24:25], v[24:25], -0.5, v[8:9]
	s_delay_alu instid0(VALU_DEP_3) | instskip(NEXT) | instid1(VALU_DEP_3)
	v_fma_f64 v[198:199], v[6:7], s[18:19], v[38:39]
	v_fma_f64 v[210:211], v[6:7], s[18:19], v[26:27]
	v_add_f64_e32 v[6:7], v[164:165], v[16:17]
	v_add_f64_e64 v[26:27], v[168:169], -v[164:165]
	v_fma_f64 v[32:33], v[28:29], s[14:15], v[24:25]
	v_fma_f64 v[24:25], v[28:29], s[16:17], v[24:25]
	s_delay_alu instid0(VALU_DEP_4) | instskip(SKIP_1) | instid1(VALU_DEP_4)
	v_fma_f64 v[6:7], v[6:7], -0.5, v[10:11]
	v_add_f64_e32 v[10:11], v[10:11], v[164:165]
	v_fma_f64 v[32:33], v[30:31], s[2:3], v[32:33]
	s_delay_alu instid0(VALU_DEP_4) | instskip(NEXT) | instid1(VALU_DEP_3)
	v_fma_f64 v[24:25], v[30:31], s[10:11], v[24:25]
	v_add_f64_e32 v[10:11], v[10:11], v[168:169]
	s_delay_alu instid0(VALU_DEP_3) | instskip(NEXT) | instid1(VALU_DEP_3)
	v_fma_f64 v[196:197], v[4:5], s[18:19], v[32:33]
	v_fma_f64 v[208:209], v[4:5], s[18:19], v[24:25]
	v_add_f64_e32 v[4:5], v[110:111], v[172:173]
	v_add_f64_e64 v[24:25], v[166:167], -v[110:111]
	v_add_f64_e64 v[32:33], v[108:109], -v[172:173]
	v_add_f64_e32 v[10:11], v[10:11], v[170:171]
	s_delay_alu instid0(VALU_DEP_4) | instskip(SKIP_1) | instid1(VALU_DEP_4)
	v_fma_f64 v[4:5], v[4:5], -0.5, v[8:9]
	v_add_f64_e32 v[8:9], v[8:9], v[110:111]
	v_add_f64_e32 v[24:25], v[24:25], v[32:33]
	s_delay_alu instid0(VALU_DEP_4) | instskip(NEXT) | instid1(VALU_DEP_4)
	v_add_f64_e32 v[206:207], v[10:11], v[16:17]
	v_fma_f64 v[10:11], v[30:31], s[16:17], v[4:5]
	s_delay_alu instid0(VALU_DEP_4) | instskip(SKIP_2) | instid1(VALU_DEP_4)
	v_add_f64_e32 v[8:9], v[8:9], v[166:167]
	v_fma_f64 v[4:5], v[30:31], s[14:15], v[4:5]
	v_add_f64_e64 v[30:31], v[18:19], -v[178:179]
	v_fma_f64 v[10:11], v[28:29], s[2:3], v[10:11]
	s_delay_alu instid0(VALU_DEP_4) | instskip(NEXT) | instid1(VALU_DEP_4)
	v_add_f64_e32 v[8:9], v[8:9], v[108:109]
	v_fma_f64 v[4:5], v[28:29], s[10:11], v[4:5]
	v_add_f64_e64 v[28:29], v[22:23], -v[14:15]
	s_delay_alu instid0(VALU_DEP_4) | instskip(NEXT) | instid1(VALU_DEP_4)
	v_fma_f64 v[212:213], v[24:25], s[18:19], v[10:11]
	v_add_f64_e32 v[204:205], v[8:9], v[172:173]
	v_add_f64_e64 v[8:9], v[170:171], -v[16:17]
	v_fma_f64 v[16:17], v[36:37], s[14:15], v[6:7]
	v_fma_f64 v[6:7], v[36:37], s[16:17], v[6:7]
	;; [unrolled: 1-line block ×3, first 2 shown]
	v_add_f64_e64 v[4:5], v[22:23], -v[18:19]
	v_add_f64_e32 v[10:11], v[20:21], v[220:221]
	v_add_f64_e64 v[24:25], v[20:21], -v[220:221]
	v_add_f64_e32 v[8:9], v[26:27], v[8:9]
	v_fma_f64 v[16:17], v[34:35], s[10:11], v[16:17]
	v_fma_f64 v[6:7], v[34:35], s[2:3], v[6:7]
	v_fma_f64 v[10:11], v[10:11], -0.5, v[2:3]
	s_delay_alu instid0(VALU_DEP_3) | instskip(NEXT) | instid1(VALU_DEP_3)
	v_fma_f64 v[214:215], v[8:9], s[18:19], v[16:17]
	v_fma_f64 v[218:219], v[8:9], s[18:19], v[6:7]
	v_add_f64_e64 v[6:7], v[14:15], -v[178:179]
	v_add_f64_e64 v[8:9], v[176:177], -v[220:221]
	;; [unrolled: 1-line block ×3, first 2 shown]
	v_fma_f64 v[32:33], v[28:29], s[14:15], v[10:11]
	v_fma_f64 v[10:11], v[28:29], s[16:17], v[10:11]
	v_add_f64_e32 v[4:5], v[4:5], v[6:7]
	v_add_f64_e64 v[6:7], v[12:13], -v[20:21]
	s_delay_alu instid0(VALU_DEP_4) | instskip(NEXT) | instid1(VALU_DEP_4)
	v_fma_f64 v[32:33], v[30:31], s[10:11], v[32:33]
	v_fma_f64 v[10:11], v[30:31], s[2:3], v[10:11]
	s_delay_alu instid0(VALU_DEP_3) | instskip(SKIP_1) | instid1(VALU_DEP_2)
	v_add_f64_e32 v[6:7], v[6:7], v[8:9]
	v_add_f64_e32 v[8:9], v[18:19], v[178:179]
	v_fma_f64 v[202:203], v[6:7], s[18:19], v[32:33]
	s_delay_alu instid0(VALU_DEP_2) | instskip(SKIP_3) | instid1(VALU_DEP_4)
	v_fma_f64 v[8:9], v[8:9], -0.5, v[0:1]
	v_fma_f64 v[174:175], v[6:7], s[18:19], v[10:11]
	v_add_f64_e32 v[6:7], v[12:13], v[176:177]
	v_add_f64_e64 v[10:11], v[20:21], -v[12:13]
	v_fma_f64 v[26:27], v[16:17], s[16:17], v[8:9]
	v_fma_f64 v[8:9], v[16:17], s[14:15], v[8:9]
	s_delay_alu instid0(VALU_DEP_4) | instskip(SKIP_1) | instid1(VALU_DEP_4)
	v_fma_f64 v[6:7], v[6:7], -0.5, v[2:3]
	v_add_f64_e32 v[2:3], v[2:3], v[20:21]
	v_fma_f64 v[26:27], v[24:25], s[2:3], v[26:27]
	s_delay_alu instid0(VALU_DEP_4) | instskip(NEXT) | instid1(VALU_DEP_3)
	v_fma_f64 v[8:9], v[24:25], s[10:11], v[8:9]
	v_add_f64_e32 v[2:3], v[2:3], v[12:13]
	v_add_f64_e64 v[12:13], v[178:179], -v[14:15]
	s_delay_alu instid0(VALU_DEP_4) | instskip(NEXT) | instid1(VALU_DEP_4)
	v_fma_f64 v[200:201], v[4:5], s[18:19], v[26:27]
	v_fma_f64 v[172:173], v[4:5], s[18:19], v[8:9]
	v_add_f64_e32 v[4:5], v[22:23], v[14:15]
	v_add_f64_e32 v[2:3], v[2:3], v[176:177]
	v_add_f64_e64 v[8:9], v[18:19], -v[22:23]
	s_delay_alu instid0(VALU_DEP_3) | instskip(SKIP_1) | instid1(VALU_DEP_4)
	v_fma_f64 v[4:5], v[4:5], -0.5, v[0:1]
	v_add_f64_e32 v[0:1], v[0:1], v[18:19]
	v_add_f64_e32 v[226:227], v[2:3], v[220:221]
	s_delay_alu instid0(VALU_DEP_4) | instskip(NEXT) | instid1(VALU_DEP_4)
	v_add_f64_e32 v[8:9], v[8:9], v[12:13]
	v_fma_f64 v[2:3], v[24:25], s[14:15], v[4:5]
	s_delay_alu instid0(VALU_DEP_4) | instskip(SKIP_1) | instid1(VALU_DEP_3)
	v_add_f64_e32 v[0:1], v[0:1], v[22:23]
	v_fma_f64 v[4:5], v[24:25], s[16:17], v[4:5]
	v_fma_f64 v[2:3], v[16:17], s[2:3], v[2:3]
	s_delay_alu instid0(VALU_DEP_3) | instskip(SKIP_3) | instid1(VALU_DEP_4)
	v_add_f64_e32 v[0:1], v[0:1], v[14:15]
	v_fma_f64 v[14:15], v[30:31], s[16:17], v[6:7]
	v_fma_f64 v[6:7], v[30:31], s[14:15], v[6:7]
	;; [unrolled: 1-line block ×3, first 2 shown]
	v_add_f64_e32 v[224:225], v[0:1], v[178:179]
	v_add_f64_e64 v[0:1], v[220:221], -v[176:177]
	s_delay_alu instid0(VALU_DEP_4) | instskip(SKIP_2) | instid1(VALU_DEP_4)
	v_fma_f64 v[6:7], v[28:29], s[2:3], v[6:7]
	v_fma_f64 v[220:221], v[8:9], s[18:19], v[2:3]
	;; [unrolled: 1-line block ×3, first 2 shown]
	v_add_f64_e32 v[0:1], v[10:11], v[0:1]
	v_fma_f64 v[10:11], v[28:29], s[10:11], v[14:15]
	s_delay_alu instid0(VALU_DEP_2) | instskip(NEXT) | instid1(VALU_DEP_2)
	v_fma_f64 v[178:179], v[0:1], s[18:19], v[6:7]
	v_fma_f64 v[222:223], v[0:1], s[18:19], v[10:11]
	ds_store_b128 v232, v[160:163]
	ds_store_b128 v232, v[204:207] offset:1632
	ds_store_b128 v232, v[224:227] offset:3264
	;; [unrolled: 1-line block ×14, first 2 shown]
	global_wb scope:SCOPE_SE
	s_wait_storecnt_dscnt 0x0
	s_barrier_signal -1
	s_barrier_wait -1
	global_inv scope:SCOPE_SE
	s_and_saveexec_b32 s1, vcc_lo
	s_cbranch_execz .LBB0_13
; %bb.12:
	global_load_b128 v[0:3], v255, s[8:9] offset:24480
	s_add_nc_u64 s[2:3], s[8:9], 0x5fa0
	s_clause 0x6
	global_load_b128 v[4:7], v255, s[2:3] offset:1440
	global_load_b128 v[8:11], v255, s[2:3] offset:2880
	;; [unrolled: 1-line block ×7, first 2 shown]
	ds_load_b128 v[24:27], v232
	v_dual_mov_b32 v40, v245 :: v_dual_mov_b32 v41, v246
	s_wait_loadcnt_dscnt 0x700
	v_mul_f64_e32 v[32:33], v[26:27], v[2:3]
	v_mul_f64_e32 v[2:3], v[24:25], v[2:3]
	s_delay_alu instid0(VALU_DEP_2) | instskip(NEXT) | instid1(VALU_DEP_2)
	v_fma_f64 v[24:25], v[24:25], v[0:1], -v[32:33]
	v_fma_f64 v[26:27], v[26:27], v[0:1], v[2:3]
	ds_store_b128 v232, v[24:27]
	ds_load_b128 v[0:3], v255 offset:1440
	ds_load_b128 v[24:27], v255 offset:2880
	s_wait_loadcnt_dscnt 0x601
	v_mul_f64_e32 v[32:33], v[2:3], v[6:7]
	v_mul_f64_e32 v[6:7], v[0:1], v[6:7]
	s_delay_alu instid0(VALU_DEP_2) | instskip(NEXT) | instid1(VALU_DEP_2)
	v_fma_f64 v[164:165], v[0:1], v[4:5], -v[32:33]
	v_fma_f64 v[166:167], v[2:3], v[4:5], v[6:7]
	s_wait_loadcnt_dscnt 0x500
	v_mul_f64_e32 v[4:5], v[26:27], v[10:11]
	v_mul_f64_e32 v[6:7], v[24:25], v[10:11]
	ds_load_b128 v[0:3], v255 offset:4320
	v_fma_f64 v[168:169], v[24:25], v[8:9], -v[4:5]
	v_fma_f64 v[170:171], v[26:27], v[8:9], v[6:7]
	ds_load_b128 v[4:7], v255 offset:5760
	s_wait_loadcnt_dscnt 0x401
	v_mul_f64_e32 v[8:9], v[2:3], v[14:15]
	v_mul_f64_e32 v[10:11], v[0:1], v[14:15]
	s_delay_alu instid0(VALU_DEP_2) | instskip(NEXT) | instid1(VALU_DEP_2)
	v_fma_f64 v[228:229], v[0:1], v[12:13], -v[8:9]
	v_fma_f64 v[230:231], v[2:3], v[12:13], v[10:11]
	s_wait_loadcnt_dscnt 0x300
	v_mul_f64_e32 v[8:9], v[6:7], v[18:19]
	v_mul_f64_e32 v[10:11], v[4:5], v[18:19]
	ds_load_b128 v[0:3], v255 offset:7200
	v_fma_f64 v[4:5], v[4:5], v[16:17], -v[8:9]
	v_fma_f64 v[6:7], v[6:7], v[16:17], v[10:11]
	ds_load_b128 v[8:11], v255 offset:8640
	s_wait_loadcnt_dscnt 0x201
	v_mul_f64_e32 v[12:13], v[2:3], v[22:23]
	v_mul_f64_e32 v[14:15], v[0:1], v[22:23]
	s_wait_loadcnt_dscnt 0x100
	v_mul_f64_e32 v[16:17], v[10:11], v[30:31]
	v_mul_f64_e32 v[18:19], v[8:9], v[30:31]
	s_delay_alu instid0(VALU_DEP_4) | instskip(NEXT) | instid1(VALU_DEP_4)
	v_fma_f64 v[0:1], v[0:1], v[20:21], -v[12:13]
	v_fma_f64 v[2:3], v[2:3], v[20:21], v[14:15]
	ds_load_b128 v[12:15], v255 offset:10080
	v_fma_f64 v[8:9], v[8:9], v[28:29], -v[16:17]
	v_fma_f64 v[10:11], v[10:11], v[28:29], v[18:19]
	ds_load_b128 v[16:19], v255 offset:11520
	s_wait_loadcnt_dscnt 0x1
	v_mul_f64_e32 v[20:21], v[14:15], v[110:111]
	v_mul_f64_e32 v[22:23], v[12:13], v[110:111]
	s_delay_alu instid0(VALU_DEP_2) | instskip(NEXT) | instid1(VALU_DEP_2)
	v_fma_f64 v[12:13], v[12:13], v[108:109], -v[20:21]
	v_fma_f64 v[14:15], v[14:15], v[108:109], v[22:23]
	s_clause 0x1
	global_load_b128 v[20:23], v255, s[2:3] offset:11520
	global_load_b128 v[24:27], v255, s[2:3] offset:12960
	s_wait_loadcnt_dscnt 0x100
	v_mul_f64_e32 v[28:29], v[18:19], v[22:23]
	v_mul_f64_e32 v[22:23], v[16:17], v[22:23]
	s_delay_alu instid0(VALU_DEP_2) | instskip(NEXT) | instid1(VALU_DEP_2)
	v_fma_f64 v[16:17], v[16:17], v[20:21], -v[28:29]
	v_fma_f64 v[18:19], v[18:19], v[20:21], v[22:23]
	ds_load_b128 v[20:23], v255 offset:12960
	ds_load_b128 v[28:31], v255 offset:14400
	s_wait_loadcnt_dscnt 0x1
	v_mul_f64_e32 v[32:33], v[22:23], v[26:27]
	v_mul_f64_e32 v[26:27], v[20:21], v[26:27]
	s_delay_alu instid0(VALU_DEP_2) | instskip(NEXT) | instid1(VALU_DEP_2)
	v_fma_f64 v[20:21], v[20:21], v[24:25], -v[32:33]
	v_fma_f64 v[22:23], v[22:23], v[24:25], v[26:27]
	s_clause 0x1
	global_load_b128 v[24:27], v255, s[2:3] offset:14400
	global_load_b128 v[108:111], v255, s[2:3] offset:15840
	ds_load_b128 v[233:236], v255 offset:15840
	ds_load_b128 v[237:240], v255 offset:17280
	s_wait_loadcnt_dscnt 0x102
	v_mul_f64_e32 v[32:33], v[30:31], v[26:27]
	v_mul_f64_e32 v[34:35], v[28:29], v[26:27]
	s_delay_alu instid0(VALU_DEP_2) | instskip(NEXT) | instid1(VALU_DEP_2)
	v_fma_f64 v[26:27], v[28:29], v[24:25], -v[32:33]
	v_fma_f64 v[28:29], v[30:31], v[24:25], v[34:35]
	s_wait_loadcnt_dscnt 0x1
	v_mul_f64_e32 v[24:25], v[235:236], v[110:111]
	v_mul_f64_e32 v[30:31], v[233:234], v[110:111]
	s_delay_alu instid0(VALU_DEP_2) | instskip(NEXT) | instid1(VALU_DEP_2)
	v_fma_f64 v[233:234], v[233:234], v[108:109], -v[24:25]
	v_fma_f64 v[235:236], v[235:236], v[108:109], v[30:31]
	s_clause 0x1
	global_load_b128 v[108:111], v255, s[2:3] offset:17280
	global_load_b128 v[241:244], v255, s[2:3] offset:18720
	ds_load_b128 v[245:248], v255 offset:20160
	s_wait_loadcnt_dscnt 0x101
	v_mul_f64_e32 v[24:25], v[239:240], v[110:111]
	v_mul_f64_e32 v[30:31], v[237:238], v[110:111]
	s_delay_alu instid0(VALU_DEP_2) | instskip(NEXT) | instid1(VALU_DEP_2)
	v_fma_f64 v[237:238], v[237:238], v[108:109], -v[24:25]
	v_fma_f64 v[239:240], v[239:240], v[108:109], v[30:31]
	ds_load_b128 v[108:111], v255 offset:18720
	s_wait_loadcnt_dscnt 0x0
	v_mul_f64_e32 v[24:25], v[110:111], v[243:244]
	v_mul_f64_e32 v[30:31], v[108:109], v[243:244]
	s_delay_alu instid0(VALU_DEP_2) | instskip(NEXT) | instid1(VALU_DEP_2)
	v_fma_f64 v[108:109], v[108:109], v[241:242], -v[24:25]
	v_fma_f64 v[110:111], v[110:111], v[241:242], v[30:31]
	s_clause 0x1
	global_load_b128 v[241:244], v255, s[2:3] offset:20160
	global_load_b128 v[249:252], v255, s[2:3] offset:21600
	s_wait_loadcnt 0x1
	v_mul_f64_e32 v[24:25], v[247:248], v[243:244]
	v_mul_f64_e32 v[30:31], v[245:246], v[243:244]
	s_delay_alu instid0(VALU_DEP_2) | instskip(NEXT) | instid1(VALU_DEP_2)
	v_fma_f64 v[243:244], v[245:246], v[241:242], -v[24:25]
	v_fma_f64 v[245:246], v[247:248], v[241:242], v[30:31]
	ds_load_b128 v[30:33], v255 offset:21600
	ds_load_b128 v[34:37], v255 offset:23040
	s_wait_loadcnt_dscnt 0x1
	v_mul_f64_e32 v[24:25], v[32:33], v[251:252]
	v_mul_f64_e32 v[38:39], v[30:31], v[251:252]
	s_delay_alu instid0(VALU_DEP_2) | instskip(NEXT) | instid1(VALU_DEP_2)
	v_fma_f64 v[30:31], v[30:31], v[249:250], -v[24:25]
	v_fma_f64 v[32:33], v[32:33], v[249:250], v[38:39]
	global_load_b128 v[247:250], v255, s[2:3] offset:23040
	ds_store_b128 v255, v[164:167] offset:1440
	ds_store_b128 v255, v[168:171] offset:2880
	;; [unrolled: 1-line block ×14, first 2 shown]
	v_dual_mov_b32 v246, v41 :: v_dual_mov_b32 v245, v40
	s_wait_loadcnt_dscnt 0xe
	v_mul_f64_e32 v[24:25], v[36:37], v[249:250]
	v_mul_f64_e32 v[38:39], v[34:35], v[249:250]
	s_delay_alu instid0(VALU_DEP_2) | instskip(NEXT) | instid1(VALU_DEP_2)
	v_fma_f64 v[34:35], v[34:35], v[247:248], -v[24:25]
	v_fma_f64 v[36:37], v[36:37], v[247:248], v[38:39]
	ds_store_b128 v255, v[30:33] offset:21600
	ds_store_b128 v255, v[34:37] offset:23040
.LBB0_13:
	s_wait_alu 0xfffe
	s_or_b32 exec_lo, exec_lo, s1
	global_wb scope:SCOPE_SE
	s_wait_dscnt 0x0
	s_barrier_signal -1
	s_barrier_wait -1
	global_inv scope:SCOPE_SE
	s_and_saveexec_b32 s1, vcc_lo
	s_cbranch_execz .LBB0_15
; %bb.14:
	ds_load_b128 v[160:163], v232
	ds_load_b128 v[180:183], v232 offset:1440
	ds_load_b128 v[188:191], v232 offset:2880
	;; [unrolled: 1-line block ×16, first 2 shown]
.LBB0_15:
	s_wait_alu 0xfffe
	s_or_b32 exec_lo, exec_lo, s1
	s_wait_dscnt 0x0
	v_add_f64_e64 v[26:27], v[182:183], -v[158:159]
	s_mov_b32 s14, 0x5d8e7cdc
	s_mov_b32 s15, 0xbfd71e95
	v_add_f64_e32 v[24:25], v[180:181], v[156:157]
	v_add_f64_e64 v[102:103], v[190:191], -v[154:155]
	s_mov_b32 s2, 0x370991
	s_mov_b32 s16, 0x2a9d6da3
	;; [unrolled: 1-line block ×4, first 2 shown]
	v_add_f64_e32 v[228:229], v[188:189], v[152:153]
	v_add_f64_e32 v[30:31], v[182:183], v[158:159]
	s_mov_b32 s10, 0x75d4884
	s_mov_b32 s11, 0x3fe7a5f6
	v_add_f64_e64 v[28:29], v[180:181], -v[156:157]
	v_add_f64_e32 v[230:231], v[190:191], v[154:155]
	v_add_f64_e64 v[243:244], v[188:189], -v[152:153]
	v_add_f64_e64 v[40:41], v[194:195], -v[178:179]
	v_add_f64_e32 v[233:234], v[192:193], v[176:177]
	v_add_f64_e32 v[235:236], v[194:195], v[178:179]
	s_mov_b32 s20, 0x2b2883cd
	s_mov_b32 s21, 0x3fdc86fa
	v_add_f64_e64 v[251:252], v[192:193], -v[176:177]
	v_add_f64_e64 v[253:254], v[186:187], -v[174:175]
	s_mov_b32 s30, 0xeb564b22
	s_mov_b32 s31, 0xbfefdd0d
	v_add_f64_e32 v[239:240], v[184:185], v[172:173]
	v_add_f64_e32 v[241:242], v[186:187], v[174:175]
	s_mov_b32 s18, 0x3259b75e
	s_mov_b32 s19, 0x3fb79ee6
	v_add_f64_e64 v[110:111], v[184:185], -v[172:173]
	s_mov_b32 s44, 0x923c349f
	s_mov_b32 s45, 0xbfeec746
	v_add_f64_e32 v[247:248], v[204:205], v[200:201]
	s_mov_b32 s22, 0xc61f0d01
	s_mov_b32 s23, 0xbfd183b1
	v_add_f64_e32 v[249:250], v[206:207], v[202:203]
	v_add_f64_e64 v[12:13], v[198:199], -v[222:223]
	s_mov_b32 s36, 0x6c9a05f6
	s_wait_alu 0xfffe
	v_mul_f64_e32 v[42:43], s[14:15], v[26:27]
	s_mov_b32 s37, 0xbfe9895b
	v_add_f64_e32 v[108:109], v[196:197], v[220:221]
	s_mov_b32 s24, 0x6ed5f1bb
	v_mul_f64_e32 v[48:49], s[16:17], v[102:103]
	s_mov_b32 s25, 0xbfe348c8
	v_add_f64_e64 v[16:17], v[196:197], -v[220:221]
	v_add_f64_e64 v[237:238], v[214:215], -v[226:227]
	s_mov_b32 s38, 0x4363dd80
	s_mov_b32 s39, 0x3fe0d888
	v_mul_f64_e32 v[44:45], s[2:3], v[30:31]
	s_mov_b32 s41, 0xbfe0d888
	s_wait_alu 0xfffe
	s_mov_b32 s40, s38
	s_mov_b32 s28, 0x910ea3b9
	v_mul_f64_e32 v[50:51], s[10:11], v[230:231]
	s_mov_b32 s29, 0xbfeb34fa
	v_mul_f64_e32 v[52:53], s[26:27], v[40:41]
	v_add_f64_e64 v[22:23], v[212:213], -v[224:225]
	v_mul_f64_e32 v[54:55], s[20:21], v[235:236]
	s_mov_b32 s49, 0xbfc7851a
	s_mov_b32 s48, 0xacd6c6b4
	;; [unrolled: 1-line block ×3, first 2 shown]
	v_mul_f64_e32 v[56:57], s[30:31], v[253:254]
	s_mov_b32 s35, 0xbfef7484
	v_mul_f64_e32 v[72:73], s[30:31], v[102:103]
	v_mul_f64_e32 v[78:79], s[18:19], v[230:231]
	;; [unrolled: 1-line block ×5, first 2 shown]
	s_wait_alu 0xfffe
	v_mul_f64_e32 v[84:85], s[48:49], v[253:254]
	s_mov_b32 s47, 0x3feec746
	s_mov_b32 s46, s44
	;; [unrolled: 1-line block ×5, first 2 shown]
	v_mul_f64_e32 v[62:63], s[22:23], v[249:250]
	v_mul_f64_e32 v[64:65], s[36:37], v[12:13]
	;; [unrolled: 1-line block ×3, first 2 shown]
	v_fma_f64 v[0:1], v[24:25], s[2:3], -v[42:43]
	s_wait_alu 0xfffe
	v_mul_f64_e32 v[86:87], s[46:47], v[12:13]
	v_fma_f64 v[2:3], v[228:229], s[10:11], -v[48:49]
	v_mul_f64_e32 v[68:69], s[40:41], v[237:238]
	v_mul_f64_e32 v[100:101], s[42:43], v[237:238]
	v_fma_f64 v[4:5], v[243:244], s[16:17], v[50:51]
	v_fma_f64 v[36:37], v[243:244], s[30:31], v[78:79]
	v_add_f64_e32 v[0:1], v[160:161], v[0:1]
	s_delay_alu instid0(VALU_DEP_1) | instskip(SKIP_1) | instid1(VALU_DEP_1)
	v_add_f64_e32 v[0:1], v[2:3], v[0:1]
	v_fma_f64 v[2:3], v[28:29], s[14:15], v[44:45]
	v_add_f64_e32 v[2:3], v[162:163], v[2:3]
	s_delay_alu instid0(VALU_DEP_1) | instskip(SKIP_1) | instid1(VALU_DEP_1)
	v_add_f64_e32 v[2:3], v[4:5], v[2:3]
	v_fma_f64 v[4:5], v[233:234], s[20:21], -v[52:53]
	v_add_f64_e32 v[0:1], v[4:5], v[0:1]
	v_fma_f64 v[4:5], v[251:252], s[26:27], v[54:55]
	s_delay_alu instid0(VALU_DEP_1) | instskip(SKIP_1) | instid1(VALU_DEP_1)
	v_add_f64_e32 v[2:3], v[4:5], v[2:3]
	v_fma_f64 v[4:5], v[239:240], s[18:19], -v[56:57]
	v_add_f64_e32 v[0:1], v[4:5], v[0:1]
	v_fma_f64 v[4:5], v[110:111], s[30:31], v[58:59]
	s_delay_alu instid0(VALU_DEP_1) | instskip(SKIP_1) | instid1(VALU_DEP_1)
	v_add_f64_e32 v[4:5], v[4:5], v[2:3]
	v_add_f64_e64 v[2:3], v[206:207], -v[202:203]
	v_mul_f64_e32 v[60:61], s[44:45], v[2:3]
	v_mul_f64_e32 v[82:83], s[38:39], v[2:3]
	s_delay_alu instid0(VALU_DEP_2) | instskip(NEXT) | instid1(VALU_DEP_1)
	v_fma_f64 v[6:7], v[247:248], s[22:23], -v[60:61]
	v_add_f64_e32 v[0:1], v[6:7], v[0:1]
	v_add_f64_e64 v[6:7], v[204:205], -v[200:201]
	s_delay_alu instid0(VALU_DEP_1) | instskip(NEXT) | instid1(VALU_DEP_1)
	v_fma_f64 v[8:9], v[6:7], s[44:45], v[62:63]
	v_add_f64_e32 v[4:5], v[8:9], v[4:5]
	v_fma_f64 v[8:9], v[108:109], s[24:25], -v[64:65]
	s_delay_alu instid0(VALU_DEP_1) | instskip(SKIP_1) | instid1(VALU_DEP_1)
	v_add_f64_e32 v[8:9], v[8:9], v[0:1]
	v_add_f64_e32 v[0:1], v[198:199], v[222:223]
	v_mul_f64_e32 v[66:67], s[24:25], v[0:1]
	s_delay_alu instid0(VALU_DEP_1) | instskip(NEXT) | instid1(VALU_DEP_1)
	v_fma_f64 v[10:11], v[16:17], s[36:37], v[66:67]
	v_add_f64_e32 v[10:11], v[10:11], v[4:5]
	v_add_f64_e32 v[4:5], v[212:213], v[224:225]
	s_delay_alu instid0(VALU_DEP_1) | instskip(NEXT) | instid1(VALU_DEP_1)
	v_fma_f64 v[14:15], v[4:5], s[28:29], -v[68:69]
	v_add_f64_e32 v[14:15], v[14:15], v[8:9]
	v_add_f64_e32 v[8:9], v[214:215], v[226:227]
	s_delay_alu instid0(VALU_DEP_1) | instskip(NEXT) | instid1(VALU_DEP_1)
	v_mul_f64_e32 v[70:71], s[28:29], v[8:9]
	v_fma_f64 v[18:19], v[22:23], s[40:41], v[70:71]
	s_delay_alu instid0(VALU_DEP_1) | instskip(SKIP_2) | instid1(VALU_DEP_2)
	v_add_f64_e32 v[32:33], v[18:19], v[10:11]
	v_add_f64_e64 v[18:19], v[218:219], -v[210:211]
	v_add_f64_e32 v[10:11], v[216:217], v[208:209]
	v_mul_f64_e32 v[74:75], s[48:49], v[18:19]
	s_delay_alu instid0(VALU_DEP_1) | instskip(NEXT) | instid1(VALU_DEP_1)
	v_fma_f64 v[20:21], v[10:11], s[34:35], -v[74:75]
	v_add_f64_e32 v[164:165], v[20:21], v[14:15]
	v_add_f64_e32 v[14:15], v[218:219], v[210:211]
	v_add_f64_e64 v[20:21], v[216:217], -v[208:209]
	s_delay_alu instid0(VALU_DEP_2) | instskip(NEXT) | instid1(VALU_DEP_1)
	v_mul_f64_e32 v[80:81], s[34:35], v[14:15]
	v_fma_f64 v[34:35], v[20:21], s[48:49], v[80:81]
	s_delay_alu instid0(VALU_DEP_1) | instskip(SKIP_4) | instid1(VALU_DEP_1)
	v_add_f64_e32 v[166:167], v[34:35], v[32:33]
	v_mul_f64_e32 v[32:33], s[16:17], v[26:27]
	v_fma_f64 v[34:35], v[228:229], s[18:19], -v[72:73]
	scratch_store_b64 off, v[32:33], off offset:448 ; 8-byte Folded Spill
	v_fma_f64 v[32:33], v[24:25], s[10:11], -v[32:33]
	v_add_f64_e32 v[32:33], v[160:161], v[32:33]
	s_delay_alu instid0(VALU_DEP_1) | instskip(SKIP_3) | instid1(VALU_DEP_1)
	v_add_f64_e32 v[32:33], v[34:35], v[32:33]
	v_mul_f64_e32 v[34:35], s[10:11], v[30:31]
	scratch_store_b64 off, v[34:35], off offset:456 ; 8-byte Folded Spill
	v_fma_f64 v[34:35], v[28:29], s[16:17], v[34:35]
	v_add_f64_e32 v[34:35], v[162:163], v[34:35]
	s_delay_alu instid0(VALU_DEP_1) | instskip(SKIP_1) | instid1(VALU_DEP_1)
	v_add_f64_e32 v[34:35], v[36:37], v[34:35]
	v_fma_f64 v[36:37], v[233:234], s[24:25], -v[76:77]
	v_add_f64_e32 v[32:33], v[36:37], v[32:33]
	v_fma_f64 v[36:37], v[251:252], s[36:37], v[38:39]
	s_delay_alu instid0(VALU_DEP_1) | instskip(SKIP_1) | instid1(VALU_DEP_1)
	v_add_f64_e32 v[34:35], v[36:37], v[34:35]
	v_fma_f64 v[36:37], v[239:240], s[34:35], -v[84:85]
	v_add_f64_e32 v[32:33], v[36:37], v[32:33]
	v_mul_f64_e32 v[36:37], s[34:35], v[241:242]
	scratch_store_b64 off, v[36:37], off offset:432 ; 8-byte Folded Spill
	v_fma_f64 v[36:37], v[110:111], s[48:49], v[36:37]
	s_delay_alu instid0(VALU_DEP_1) | instskip(SKIP_1) | instid1(VALU_DEP_1)
	v_add_f64_e32 v[34:35], v[36:37], v[34:35]
	v_fma_f64 v[36:37], v[247:248], s[28:29], -v[82:83]
	v_add_f64_e32 v[32:33], v[36:37], v[32:33]
	v_fma_f64 v[36:37], v[6:7], s[38:39], v[46:47]
	s_delay_alu instid0(VALU_DEP_1) | instskip(SKIP_1) | instid1(VALU_DEP_1)
	v_add_f64_e32 v[34:35], v[36:37], v[34:35]
	v_fma_f64 v[36:37], v[108:109], s[22:23], -v[86:87]
	v_add_f64_e32 v[32:33], v[36:37], v[32:33]
	v_mul_f64_e32 v[36:37], s[22:23], v[0:1]
	scratch_store_b64 off, v[36:37], off offset:416 ; 8-byte Folded Spill
	v_fma_f64 v[36:37], v[16:17], s[46:47], v[36:37]
	s_delay_alu instid0(VALU_DEP_1) | instskip(SKIP_1) | instid1(VALU_DEP_1)
	v_add_f64_e32 v[34:35], v[36:37], v[34:35]
	v_fma_f64 v[36:37], v[4:5], s[20:21], -v[100:101]
	v_add_f64_e32 v[32:33], v[36:37], v[32:33]
	v_mul_f64_e32 v[36:37], s[20:21], v[8:9]
	scratch_store_b64 off, v[36:37], off offset:424 ; 8-byte Folded Spill
	v_fma_f64 v[36:37], v[22:23], s[42:43], v[36:37]
	s_delay_alu instid0(VALU_DEP_1)
	v_add_f64_e32 v[34:35], v[36:37], v[34:35]
	v_mul_f64_e32 v[36:37], s[50:51], v[18:19]
	scratch_store_b64 off, v[36:37], off offset:440 ; 8-byte Folded Spill
	v_fma_f64 v[36:37], v[10:11], s[2:3], -v[36:37]
	global_wb scope:SCOPE_SE
	s_wait_storecnt 0x0
	s_barrier_signal -1
	s_barrier_wait -1
	global_inv scope:SCOPE_SE
	v_add_f64_e32 v[168:169], v[36:37], v[32:33]
	v_mul_f64_e32 v[36:37], s[2:3], v[14:15]
	s_delay_alu instid0(VALU_DEP_1) | instskip(NEXT) | instid1(VALU_DEP_1)
	v_fma_f64 v[32:33], v[20:21], s[50:51], v[36:37]
	v_add_f64_e32 v[170:171], v[32:33], v[34:35]
	s_and_saveexec_b32 s1, vcc_lo
	s_cbranch_execz .LBB0_17
; %bb.16:
	v_add_f64_e32 v[32:33], v[162:163], v[182:183]
	v_add_f64_e32 v[34:35], v[160:161], v[180:181]
	v_mul_f64_e32 v[180:181], s[26:27], v[28:29]
	s_mov_b32 s55, 0x3fe58eea
	s_mov_b32 s54, s16
	;; [unrolled: 1-line block ×6, first 2 shown]
	s_delay_alu instid0(VALU_DEP_3) | instskip(NEXT) | instid1(VALU_DEP_3)
	v_add_f64_e32 v[32:33], v[32:33], v[190:191]
	v_add_f64_e32 v[34:35], v[34:35], v[188:189]
	s_delay_alu instid0(VALU_DEP_3)
	v_fma_f64 v[182:183], v[30:31], s[20:21], v[180:181]
	v_mul_f64_e32 v[188:189], s[40:41], v[26:27]
	v_mul_f64_e32 v[190:191], s[36:37], v[26:27]
	v_add_f64_e32 v[32:33], v[32:33], v[194:195]
	v_add_f64_e32 v[34:35], v[34:35], v[192:193]
	v_mul_f64_e32 v[192:193], s[44:45], v[26:27]
	v_mul_f64_e32 v[194:195], s[30:31], v[26:27]
	s_delay_alu instid0(VALU_DEP_4) | instskip(NEXT) | instid1(VALU_DEP_4)
	v_add_f64_e32 v[32:33], v[32:33], v[186:187]
	v_add_f64_e32 v[34:35], v[34:35], v[184:185]
	s_clause 0x1
	scratch_load_b64 v[184:185], off, off offset:456 th:TH_LOAD_LU
	scratch_load_b64 v[186:187], off, off offset:448 th:TH_LOAD_LU
	v_add_f64_e32 v[32:33], v[32:33], v[206:207]
	v_add_f64_e32 v[34:35], v[34:35], v[204:205]
	v_fma_f64 v[204:205], v[24:25], s[18:19], -v[194:195]
	v_fma_f64 v[194:195], v[24:25], s[18:19], v[194:195]
	s_delay_alu instid0(VALU_DEP_4) | instskip(NEXT) | instid1(VALU_DEP_4)
	v_add_f64_e32 v[32:33], v[32:33], v[198:199]
	v_add_f64_e32 v[34:35], v[34:35], v[196:197]
	v_fma_f64 v[198:199], v[24:25], s[28:29], -v[188:189]
	v_fma_f64 v[188:189], v[24:25], s[28:29], v[188:189]
	s_delay_alu instid0(VALU_DEP_4) | instskip(NEXT) | instid1(VALU_DEP_4)
	v_add_f64_e32 v[32:33], v[32:33], v[214:215]
	v_add_f64_e32 v[34:35], v[34:35], v[212:213]
	v_dual_mov_b32 v213, v39 :: v_dual_mov_b32 v212, v38
	v_add_f64_e32 v[198:199], v[160:161], v[198:199]
	v_add_f64_e32 v[188:189], v[160:161], v[188:189]
	;; [unrolled: 1-line block ×4, first 2 shown]
	v_dual_mov_b32 v217, v37 :: v_dual_mov_b32 v216, v36
	v_mul_f64_e32 v[36:37], s[40:41], v[28:29]
	s_wait_alu 0xfffe
	v_mul_f64_e32 v[218:219], s[54:55], v[253:254]
	v_add_f64_e32 v[32:33], v[32:33], v[210:211]
	v_add_f64_e32 v[34:35], v[34:35], v[208:209]
	v_dual_mov_b32 v209, v41 :: v_dual_mov_b32 v208, v40
	v_fma_f64 v[38:39], v[30:31], s[28:29], v[36:37]
	v_fma_f64 v[36:37], v[30:31], s[28:29], -v[36:37]
	v_add_f64_e32 v[32:33], v[32:33], v[226:227]
	v_add_f64_e32 v[34:35], v[34:35], v[224:225]
	v_mul_f64_e32 v[224:225], s[42:43], v[16:17]
	v_mul_f64_e32 v[226:227], s[42:43], v[12:13]
	v_add_f64_e32 v[38:39], v[162:163], v[38:39]
	v_add_f64_e32 v[36:37], v[162:163], v[36:37]
	v_add_f64_e32 v[32:33], v[32:33], v[222:223]
	v_add_f64_e32 v[34:35], v[34:35], v[220:221]
	v_mul_f64_e32 v[220:221], s[36:37], v[6:7]
	v_mul_f64_e32 v[222:223], s[36:37], v[2:3]
	s_delay_alu instid0(VALU_DEP_4) | instskip(NEXT) | instid1(VALU_DEP_4)
	v_add_f64_e32 v[32:33], v[32:33], v[202:203]
	v_add_f64_e32 v[34:35], v[34:35], v[200:201]
	v_fma_f64 v[200:201], v[24:25], s[24:25], -v[190:191]
	v_fma_f64 v[190:191], v[24:25], s[24:25], v[190:191]
	v_fma_f64 v[202:203], v[24:25], s[22:23], -v[192:193]
	v_fma_f64 v[192:193], v[24:25], s[22:23], v[192:193]
	v_add_f64_e32 v[32:33], v[32:33], v[174:175]
	v_add_f64_e32 v[34:35], v[34:35], v[172:173]
	v_mul_f64_e32 v[172:173], s[44:45], v[28:29]
	v_add_f64_e32 v[190:191], v[160:161], v[190:191]
	v_add_f64_e32 v[192:193], v[160:161], v[192:193]
	;; [unrolled: 1-line block ×4, first 2 shown]
	v_mul_f64_e32 v[176:177], s[30:31], v[28:29]
	v_fma_f64 v[174:175], v[30:31], s[22:23], v[172:173]
	v_fma_f64 v[172:173], v[30:31], s[22:23], -v[172:173]
	v_add_f64_e32 v[32:33], v[32:33], v[154:155]
	v_add_f64_e32 v[34:35], v[34:35], v[152:153]
	v_fma_f64 v[178:179], v[30:31], s[18:19], v[176:177]
	v_fma_f64 v[176:177], v[30:31], s[18:19], -v[176:177]
	v_add_f64_e32 v[214:215], v[162:163], v[172:173]
	v_add_f64_e32 v[154:155], v[32:33], v[158:159]
	;; [unrolled: 1-line block ×3, first 2 shown]
	v_mul_f64_e32 v[32:33], s[48:49], v[28:29]
	v_mul_f64_e32 v[156:157], s[36:37], v[28:29]
	v_add_f64_e32 v[176:177], v[162:163], v[176:177]
	s_delay_alu instid0(VALU_DEP_3) | instskip(SKIP_1) | instid1(VALU_DEP_4)
	v_fma_f64 v[34:35], v[30:31], s[34:35], v[32:33]
	v_fma_f64 v[32:33], v[30:31], s[34:35], -v[32:33]
	v_fma_f64 v[158:159], v[30:31], s[24:25], v[156:157]
	v_fma_f64 v[156:157], v[30:31], s[24:25], -v[156:157]
	v_fma_f64 v[30:31], v[30:31], s[20:21], -v[180:181]
	v_mul_f64_e32 v[180:181], s[16:17], v[28:29]
	v_mul_f64_e32 v[28:29], s[14:15], v[28:29]
	v_add_f64_e32 v[34:35], v[162:163], v[34:35]
	v_add_f64_e32 v[32:33], v[162:163], v[32:33]
	;; [unrolled: 1-line block ×4, first 2 shown]
	s_wait_loadcnt 0x1
	v_add_f64_e64 v[180:181], v[184:185], -v[180:181]
	v_mul_f64_e32 v[184:185], s[10:11], v[24:25]
	v_add_f64_e64 v[28:29], v[44:45], -v[28:29]
	v_mul_f64_e32 v[44:45], s[52:53], v[20:21]
	s_delay_alu instid0(VALU_DEP_4) | instskip(SKIP_1) | instid1(VALU_DEP_4)
	v_add_f64_e32 v[180:181], v[162:163], v[180:181]
	s_wait_loadcnt 0x0
	v_add_f64_e32 v[184:185], v[184:185], v[186:187]
	v_mul_f64_e32 v[186:187], s[48:49], v[26:27]
	v_mul_f64_e32 v[26:27], s[26:27], v[26:27]
	s_delay_alu instid0(VALU_DEP_2) | instskip(SKIP_1) | instid1(VALU_DEP_3)
	v_fma_f64 v[196:197], v[24:25], s[34:35], -v[186:187]
	v_fma_f64 v[186:187], v[24:25], s[34:35], v[186:187]
	v_fma_f64 v[206:207], v[24:25], s[20:21], -v[26:27]
	v_fma_f64 v[26:27], v[24:25], s[20:21], v[26:27]
	v_mul_f64_e32 v[24:25], s[2:3], v[24:25]
	v_add_f64_e32 v[196:197], v[160:161], v[196:197]
	v_add_f64_e32 v[186:187], v[160:161], v[186:187]
	s_delay_alu instid0(VALU_DEP_3)
	v_add_f64_e32 v[24:25], v[24:25], v[42:43]
	v_add_f64_e32 v[42:43], v[162:163], v[158:159]
	scratch_store_b64 off, v[42:43], off offset:504 ; 8-byte Folded Spill
	v_add_f64_e32 v[42:43], v[160:161], v[200:201]
	scratch_store_b64 off, v[42:43], off offset:496 ; 8-byte Folded Spill
	v_add_f64_e32 v[42:43], v[162:163], v[174:175]
	v_add_f64_e32 v[174:175], v[160:161], v[26:27]
	scratch_store_b64 off, v[42:43], off offset:488 ; 8-byte Folded Spill
	v_add_f64_e32 v[42:43], v[160:161], v[202:203]
	scratch_store_b64 off, v[42:43], off offset:480 ; 8-byte Folded Spill
	v_add_f64_e32 v[42:43], v[162:163], v[178:179]
	v_add_f64_e32 v[178:179], v[160:161], v[194:195]
	v_dual_mov_b32 v195, v47 :: v_dual_mov_b32 v194, v46
	v_fma_f64 v[46:47], v[14:15], s[18:19], v[44:45]
	scratch_store_b64 off, v[42:43], off offset:472 ; 8-byte Folded Spill
	v_add_f64_e32 v[42:43], v[160:161], v[204:205]
	scratch_store_b64 off, v[42:43], off offset:464 ; 8-byte Folded Spill
	v_add_f64_e32 v[42:43], v[162:163], v[182:183]
	v_add_f64_e32 v[182:183], v[160:161], v[184:185]
	;; [unrolled: 1-line block ×3, first 2 shown]
	v_mul_f64_e32 v[28:29], s[50:51], v[102:103]
	v_mul_f64_e32 v[184:185], s[40:41], v[40:41]
	;; [unrolled: 1-line block ×3, first 2 shown]
	scratch_store_b64 off, v[42:43], off offset:456 ; 8-byte Folded Spill
	v_add_f64_e32 v[42:43], v[160:161], v[206:207]
	v_add_f64_e32 v[160:161], v[160:161], v[24:25]
	v_mul_f64_e32 v[24:25], s[50:51], v[243:244]
	v_fma_f64 v[30:31], v[228:229], s[2:3], -v[28:29]
	v_fma_f64 v[28:29], v[228:229], s[2:3], v[28:29]
	scratch_store_b64 off, v[42:43], off offset:448 ; 8-byte Folded Spill
	v_fma_f64 v[42:43], v[8:9], s[22:23], v[40:41]
	v_fma_f64 v[26:27], v[230:231], s[2:3], v[24:25]
	v_add_f64_e32 v[30:31], v[30:31], v[196:197]
	v_mul_f64_e32 v[196:197], s[54:55], v[110:111]
	v_fma_f64 v[24:25], v[230:231], s[2:3], -v[24:25]
	v_add_f64_e32 v[28:29], v[28:29], v[186:187]
	v_add_f64_e32 v[26:27], v[26:27], v[34:35]
	v_mul_f64_e32 v[34:35], s[40:41], v[251:252]
	s_delay_alu instid0(VALU_DEP_4) | instskip(NEXT) | instid1(VALU_DEP_2)
	v_add_f64_e32 v[24:25], v[24:25], v[32:33]
	v_fma_f64 v[156:157], v[235:236], s[28:29], v[34:35]
	s_delay_alu instid0(VALU_DEP_1) | instskip(SKIP_1) | instid1(VALU_DEP_1)
	v_add_f64_e32 v[26:27], v[156:157], v[26:27]
	v_fma_f64 v[156:157], v[233:234], s[28:29], -v[184:185]
	v_add_f64_e32 v[30:31], v[156:157], v[30:31]
	v_fma_f64 v[156:157], v[241:242], s[10:11], v[196:197]
	s_delay_alu instid0(VALU_DEP_1) | instskip(SKIP_1) | instid1(VALU_DEP_1)
	v_add_f64_e32 v[26:27], v[156:157], v[26:27]
	v_fma_f64 v[156:157], v[239:240], s[10:11], -v[218:219]
	;; [unrolled: 5-line block ×3, first 2 shown]
	v_add_f64_e32 v[30:31], v[156:157], v[30:31]
	v_fma_f64 v[156:157], v[0:1], s[20:21], v[224:225]
	s_delay_alu instid0(VALU_DEP_1) | instskip(SKIP_1) | instid1(VALU_DEP_2)
	v_add_f64_e32 v[26:27], v[156:157], v[26:27]
	v_fma_f64 v[156:157], v[108:109], s[20:21], -v[226:227]
	v_add_f64_e32 v[26:27], v[42:43], v[26:27]
	v_mul_f64_e32 v[42:43], s[44:45], v[237:238]
	s_delay_alu instid0(VALU_DEP_3) | instskip(NEXT) | instid1(VALU_DEP_3)
	v_add_f64_e32 v[30:31], v[156:157], v[30:31]
	v_add_f64_e32 v[158:159], v[46:47], v[26:27]
	s_delay_alu instid0(VALU_DEP_3) | instskip(SKIP_1) | instid1(VALU_DEP_2)
	v_fma_f64 v[156:157], v[4:5], s[22:23], -v[42:43]
	v_mul_f64_e32 v[26:27], s[52:53], v[18:19]
	v_add_f64_e32 v[30:31], v[156:157], v[30:31]
	s_delay_alu instid0(VALU_DEP_2) | instskip(SKIP_1) | instid1(VALU_DEP_2)
	v_fma_f64 v[46:47], v[10:11], s[18:19], -v[26:27]
	v_fma_f64 v[32:33], v[10:11], s[18:19], v[26:27]
	v_add_f64_e32 v[156:157], v[46:47], v[30:31]
	v_fma_f64 v[30:31], v[235:236], s[28:29], -v[34:35]
	v_mul_f64_e32 v[34:35], s[42:43], v[102:103]
	s_delay_alu instid0(VALU_DEP_2) | instskip(SKIP_1) | instid1(VALU_DEP_1)
	v_add_f64_e32 v[24:25], v[30:31], v[24:25]
	v_fma_f64 v[30:31], v[233:234], s[28:29], v[184:185]
	v_add_f64_e32 v[28:29], v[30:31], v[28:29]
	v_fma_f64 v[30:31], v[241:242], s[10:11], -v[196:197]
	s_delay_alu instid0(VALU_DEP_1) | instskip(SKIP_1) | instid1(VALU_DEP_1)
	v_add_f64_e32 v[24:25], v[30:31], v[24:25]
	v_fma_f64 v[30:31], v[239:240], s[10:11], v[218:219]
	v_add_f64_e32 v[28:29], v[30:31], v[28:29]
	v_fma_f64 v[30:31], v[249:250], s[24:25], -v[220:221]
	s_delay_alu instid0(VALU_DEP_1) | instskip(SKIP_2) | instid1(VALU_DEP_2)
	v_add_f64_e32 v[24:25], v[30:31], v[24:25]
	v_fma_f64 v[30:31], v[247:248], s[24:25], v[222:223]
	v_mul_f64_e32 v[222:223], s[44:45], v[20:21]
	v_add_f64_e32 v[28:29], v[30:31], v[28:29]
	v_fma_f64 v[30:31], v[0:1], s[20:21], -v[224:225]
	v_mul_f64_e32 v[224:225], s[44:45], v[18:19]
	s_delay_alu instid0(VALU_DEP_2) | instskip(SKIP_2) | instid1(VALU_DEP_2)
	v_add_f64_e32 v[24:25], v[30:31], v[24:25]
	v_fma_f64 v[30:31], v[108:109], s[20:21], v[226:227]
	v_mul_f64_e32 v[226:227], s[46:47], v[253:254]
	v_add_f64_e32 v[28:29], v[30:31], v[28:29]
	v_fma_f64 v[30:31], v[8:9], s[22:23], -v[40:41]
	s_delay_alu instid0(VALU_DEP_1) | instskip(SKIP_1) | instid1(VALU_DEP_1)
	v_add_f64_e32 v[24:25], v[30:31], v[24:25]
	v_fma_f64 v[30:31], v[4:5], s[22:23], v[42:43]
	v_add_f64_e32 v[28:29], v[30:31], v[28:29]
	v_fma_f64 v[30:31], v[14:15], s[18:19], -v[44:45]
	s_delay_alu instid0(VALU_DEP_1) | instskip(NEXT) | instid1(VALU_DEP_3)
	v_add_f64_e32 v[26:27], v[30:31], v[24:25]
	v_add_f64_e32 v[24:25], v[32:33], v[28:29]
	v_mul_f64_e32 v[32:33], s[42:43], v[243:244]
	v_fma_f64 v[30:31], v[228:229], s[20:21], -v[34:35]
	v_fma_f64 v[34:35], v[228:229], s[20:21], v[34:35]
	s_delay_alu instid0(VALU_DEP_3) | instskip(NEXT) | instid1(VALU_DEP_3)
	v_fma_f64 v[28:29], v[230:231], s[20:21], v[32:33]
	v_add_f64_e32 v[30:31], v[30:31], v[198:199]
	v_fma_f64 v[32:33], v[230:231], s[20:21], -v[32:33]
	s_delay_alu instid0(VALU_DEP_4) | instskip(SKIP_4) | instid1(VALU_DEP_4)
	v_add_f64_e32 v[34:35], v[34:35], v[188:189]
	v_mul_f64_e32 v[188:189], s[36:37], v[16:17]
	v_add_f64_e32 v[28:29], v[28:29], v[38:39]
	v_mul_f64_e32 v[38:39], s[30:31], v[251:252]
	v_add_f64_e32 v[32:33], v[32:33], v[36:37]
	v_add_f64_e64 v[188:189], v[66:67], -v[188:189]
	s_delay_alu instid0(VALU_DEP_3) | instskip(SKIP_2) | instid1(VALU_DEP_3)
	v_fma_f64 v[40:41], v[235:236], s[18:19], v[38:39]
	v_fma_f64 v[36:37], v[235:236], s[18:19], -v[38:39]
	v_fma_f64 v[38:39], v[10:11], s[22:23], v[224:225]
	v_add_f64_e32 v[28:29], v[40:41], v[28:29]
	v_mul_f64_e32 v[40:41], s[30:31], v[208:209]
	s_delay_alu instid0(VALU_DEP_4) | instskip(NEXT) | instid1(VALU_DEP_2)
	v_add_f64_e32 v[32:33], v[36:37], v[32:33]
	v_fma_f64 v[42:43], v[233:234], s[18:19], -v[40:41]
	v_fma_f64 v[36:37], v[233:234], s[18:19], v[40:41]
	v_mul_f64_e32 v[40:41], s[16:17], v[243:244]
	s_delay_alu instid0(VALU_DEP_3) | instskip(SKIP_1) | instid1(VALU_DEP_4)
	v_add_f64_e32 v[30:31], v[42:43], v[30:31]
	v_mul_f64_e32 v[42:43], s[56:57], v[110:111]
	v_add_f64_e32 v[34:35], v[36:37], v[34:35]
	s_delay_alu instid0(VALU_DEP_4) | instskip(NEXT) | instid1(VALU_DEP_3)
	v_add_f64_e64 v[40:41], v[50:51], -v[40:41]
	v_fma_f64 v[44:45], v[241:242], s[24:25], v[42:43]
	v_fma_f64 v[36:37], v[241:242], s[24:25], -v[42:43]
	s_delay_alu instid0(VALU_DEP_3)
	v_add_f64_e32 v[40:41], v[40:41], v[162:163]
	v_mul_f64_e32 v[42:43], s[18:19], v[239:240]
	v_mul_f64_e32 v[162:163], s[18:19], v[228:229]
	v_add_f64_e32 v[28:29], v[44:45], v[28:29]
	v_mul_f64_e32 v[44:45], s[56:57], v[253:254]
	v_add_f64_e32 v[32:33], v[36:37], v[32:33]
	v_add_f64_e32 v[42:43], v[42:43], v[56:57]
	;; [unrolled: 1-line block ×3, first 2 shown]
	v_mul_f64_e32 v[56:57], s[30:31], v[22:23]
	v_mul_f64_e32 v[72:73], s[40:41], v[16:17]
	v_fma_f64 v[46:47], v[239:240], s[24:25], -v[44:45]
	v_fma_f64 v[36:37], v[239:240], s[24:25], v[44:45]
	v_mul_f64_e32 v[44:45], s[20:21], v[233:234]
	v_add_f64_e32 v[162:163], v[162:163], v[182:183]
	s_delay_alu instid0(VALU_DEP_4) | instskip(SKIP_4) | instid1(VALU_DEP_4)
	v_add_f64_e32 v[30:31], v[46:47], v[30:31]
	v_mul_f64_e32 v[46:47], s[14:15], v[6:7]
	v_add_f64_e32 v[34:35], v[36:37], v[34:35]
	v_add_f64_e32 v[44:45], v[44:45], v[52:53]
	v_mul_f64_e32 v[52:53], s[14:15], v[16:17]
	v_fma_f64 v[184:185], v[249:250], s[2:3], v[46:47]
	v_fma_f64 v[36:37], v[249:250], s[2:3], -v[46:47]
	v_mul_f64_e32 v[46:47], s[10:11], v[228:229]
	s_delay_alu instid0(VALU_DEP_3) | instskip(SKIP_1) | instid1(VALU_DEP_4)
	v_add_f64_e32 v[28:29], v[184:185], v[28:29]
	v_mul_f64_e32 v[184:185], s[14:15], v[2:3]
	v_add_f64_e32 v[32:33], v[36:37], v[32:33]
	s_delay_alu instid0(VALU_DEP_4)
	v_add_f64_e32 v[46:47], v[46:47], v[48:49]
	scratch_load_b64 v[48:49], off, off offset:416 th:TH_LOAD_LU ; 8-byte Folded Reload
	v_fma_f64 v[186:187], v[247:248], s[2:3], -v[184:185]
	v_fma_f64 v[36:37], v[247:248], s[2:3], v[184:185]
	v_mul_f64_e32 v[184:185], s[44:45], v[6:7]
	v_add_f64_e32 v[46:47], v[46:47], v[160:161]
	v_mul_f64_e32 v[160:161], s[24:25], v[108:109]
	v_add_f64_e32 v[30:31], v[186:187], v[30:31]
	;; [unrolled: 2-line block ×3, first 2 shown]
	v_add_f64_e64 v[184:185], v[62:63], -v[184:185]
	v_add_f64_e32 v[160:161], v[160:161], v[64:65]
	v_mul_f64_e32 v[64:65], s[50:51], v[110:111]
	v_fma_f64 v[196:197], v[0:1], s[34:35], v[186:187]
	v_fma_f64 v[36:37], v[0:1], s[34:35], -v[186:187]
	v_mul_f64_e32 v[186:187], s[22:23], v[247:248]
	s_delay_alu instid0(VALU_DEP_4) | instskip(NEXT) | instid1(VALU_DEP_4)
	v_fma_f64 v[66:67], v[241:242], s[2:3], -v[64:65]
	v_add_f64_e32 v[28:29], v[196:197], v[28:29]
	v_mul_f64_e32 v[196:197], s[48:49], v[12:13]
	v_add_f64_e32 v[32:33], v[36:37], v[32:33]
	v_add_f64_e32 v[186:187], v[186:187], v[60:61]
	v_mul_f64_e32 v[60:61], s[46:47], v[251:252]
	s_delay_alu instid0(VALU_DEP_4) | instskip(SKIP_2) | instid1(VALU_DEP_4)
	v_fma_f64 v[198:199], v[108:109], s[34:35], -v[196:197]
	v_fma_f64 v[36:37], v[108:109], s[34:35], v[196:197]
	v_mul_f64_e32 v[196:197], s[48:49], v[102:103]
	v_fma_f64 v[62:63], v[235:236], s[22:23], -v[60:61]
	s_delay_alu instid0(VALU_DEP_4) | instskip(SKIP_2) | instid1(VALU_DEP_2)
	v_add_f64_e32 v[30:31], v[198:199], v[30:31]
	v_mul_f64_e32 v[198:199], s[54:55], v[22:23]
	v_add_f64_e32 v[34:35], v[36:37], v[34:35]
	v_fma_f64 v[218:219], v[8:9], s[10:11], v[198:199]
	v_fma_f64 v[36:37], v[8:9], s[10:11], -v[198:199]
	v_mul_f64_e32 v[198:199], s[48:49], v[6:7]
	s_delay_alu instid0(VALU_DEP_3) | instskip(SKIP_1) | instid1(VALU_DEP_4)
	v_add_f64_e32 v[28:29], v[218:219], v[28:29]
	v_mul_f64_e32 v[218:219], s[54:55], v[237:238]
	v_add_f64_e32 v[32:33], v[36:37], v[32:33]
	s_delay_alu instid0(VALU_DEP_2) | instskip(SKIP_2) | instid1(VALU_DEP_3)
	v_fma_f64 v[36:37], v[4:5], s[10:11], v[218:219]
	v_fma_f64 v[220:221], v[4:5], s[10:11], -v[218:219]
	v_mul_f64_e32 v[218:219], s[48:49], v[2:3]
	v_add_f64_e32 v[36:37], v[36:37], v[34:35]
	v_fma_f64 v[34:35], v[14:15], s[22:23], -v[222:223]
	s_delay_alu instid0(VALU_DEP_4) | instskip(SKIP_1) | instid1(VALU_DEP_3)
	v_add_f64_e32 v[220:221], v[220:221], v[30:31]
	v_fma_f64 v[30:31], v[14:15], s[22:23], v[222:223]
	v_add_f64_e32 v[34:35], v[34:35], v[32:33]
	v_add_f64_e32 v[32:33], v[38:39], v[36:37]
	v_mul_f64_e32 v[38:39], s[26:27], v[251:252]
	v_mul_f64_e32 v[36:37], s[30:31], v[110:111]
	v_add_f64_e32 v[30:31], v[30:31], v[28:29]
	v_fma_f64 v[28:29], v[10:11], s[22:23], -v[224:225]
	v_mul_f64_e32 v[224:225], s[46:47], v[110:111]
	v_add_f64_e64 v[38:39], v[54:55], -v[38:39]
	v_add_f64_e64 v[36:37], v[58:59], -v[36:37]
	v_fma_f64 v[54:55], v[0:1], s[2:3], -v[52:53]
	v_add_f64_e32 v[28:29], v[28:29], v[220:221]
	v_fma_f64 v[58:59], v[8:9], s[18:19], -v[56:57]
	v_add_f64_e32 v[38:39], v[38:39], v[40:41]
	v_add_f64_e32 v[40:41], v[44:45], v[46:47]
	v_mul_f64_e32 v[44:45], s[40:41], v[22:23]
	v_mul_f64_e32 v[46:47], s[34:35], v[10:11]
	s_delay_alu instid0(VALU_DEP_4) | instskip(NEXT) | instid1(VALU_DEP_4)
	v_add_f64_e32 v[36:37], v[36:37], v[38:39]
	v_add_f64_e32 v[38:39], v[42:43], v[40:41]
	s_delay_alu instid0(VALU_DEP_4)
	v_add_f64_e64 v[44:45], v[70:71], -v[44:45]
	v_mul_f64_e32 v[40:41], s[28:29], v[4:5]
	v_mul_f64_e32 v[42:43], s[48:49], v[20:21]
	v_add_f64_e32 v[46:47], v[46:47], v[74:75]
	v_fma_f64 v[74:75], v[0:1], s[28:29], -v[72:73]
	v_add_f64_e32 v[36:37], v[184:185], v[36:37]
	v_add_f64_e32 v[38:39], v[186:187], v[38:39]
	v_mul_f64_e32 v[184:185], s[38:39], v[6:7]
	v_add_f64_e32 v[40:41], v[40:41], v[68:69]
	v_add_f64_e64 v[42:43], v[80:81], -v[42:43]
	v_mul_f64_e32 v[186:187], s[28:29], v[247:248]
	v_mul_f64_e32 v[68:69], s[26:27], v[6:7]
	;; [unrolled: 1-line block ×3, first 2 shown]
	v_add_f64_e32 v[36:37], v[188:189], v[36:37]
	v_add_f64_e32 v[38:39], v[160:161], v[38:39]
	v_mul_f64_e32 v[188:189], s[46:47], v[16:17]
	v_mul_f64_e32 v[160:161], s[24:25], v[233:234]
	v_add_f64_e64 v[184:185], v[194:195], -v[184:185]
	v_add_f64_e32 v[186:187], v[186:187], v[82:83]
	v_fma_f64 v[70:71], v[249:250], s[20:21], -v[68:69]
	v_fma_f64 v[82:83], v[14:15], s[10:11], -v[80:81]
	v_add_f64_e32 v[36:37], v[44:45], v[36:37]
	v_add_f64_e32 v[40:41], v[40:41], v[38:39]
	v_mul_f64_e32 v[44:45], s[30:31], v[243:244]
	v_add_f64_e32 v[160:161], v[160:161], v[76:77]
	v_mul_f64_e32 v[76:77], s[56:57], v[22:23]
	s_wait_loadcnt 0x0
	v_add_f64_e64 v[188:189], v[48:49], -v[188:189]
	scratch_load_b64 v[48:49], off, off offset:424 th:TH_LOAD_LU ; 8-byte Folded Reload
	v_add_f64_e32 v[38:39], v[42:43], v[36:37]
	scratch_load_b64 v[42:43], off, off offset:432 th:TH_LOAD_LU ; 8-byte Folded Reload
	v_add_f64_e32 v[36:37], v[46:47], v[40:41]
	v_mul_f64_e32 v[40:41], s[48:49], v[110:111]
	v_add_f64_e64 v[44:45], v[78:79], -v[44:45]
	v_mul_f64_e32 v[46:47], s[34:35], v[239:240]
	v_fma_f64 v[78:79], v[8:9], s[24:25], -v[76:77]
	s_delay_alu instid0(VALU_DEP_3) | instskip(NEXT) | instid1(VALU_DEP_3)
	v_add_f64_e32 v[44:45], v[44:45], v[180:181]
	v_add_f64_e32 v[46:47], v[46:47], v[84:85]
	v_mul_f64_e32 v[180:181], s[22:23], v[108:109]
	v_mul_f64_e32 v[84:85], s[36:37], v[20:21]
	s_delay_alu instid0(VALU_DEP_2) | instskip(NEXT) | instid1(VALU_DEP_2)
	v_add_f64_e32 v[180:181], v[180:181], v[86:87]
	v_fma_f64 v[86:87], v[14:15], s[24:25], -v[84:85]
	s_wait_loadcnt 0x0
	v_add_f64_e64 v[40:41], v[42:43], -v[40:41]
	v_mul_f64_e32 v[42:43], s[36:37], v[251:252]
	s_delay_alu instid0(VALU_DEP_1) | instskip(NEXT) | instid1(VALU_DEP_1)
	v_add_f64_e64 v[42:43], v[212:213], -v[42:43]
	v_add_f64_e32 v[42:43], v[42:43], v[44:45]
	v_add_f64_e32 v[44:45], v[160:161], v[162:163]
	v_mul_f64_e32 v[160:161], s[42:43], v[22:23]
	v_mul_f64_e32 v[162:163], s[2:3], v[10:11]
	s_delay_alu instid0(VALU_DEP_4) | instskip(NEXT) | instid1(VALU_DEP_4)
	v_add_f64_e32 v[40:41], v[40:41], v[42:43]
	v_add_f64_e32 v[42:43], v[46:47], v[44:45]
	v_mul_f64_e32 v[44:45], s[20:21], v[4:5]
	v_mul_f64_e32 v[46:47], s[50:51], v[20:21]
	v_add_f64_e64 v[160:161], v[48:49], -v[160:161]
	scratch_load_b64 v[48:49], off, off offset:440 th:TH_LOAD_LU ; 8-byte Folded Reload
	v_add_f64_e32 v[40:41], v[184:185], v[40:41]
	v_add_f64_e32 v[42:43], v[186:187], v[42:43]
	;; [unrolled: 1-line block ×3, first 2 shown]
	v_add_f64_e64 v[46:47], v[216:217], -v[46:47]
	v_mul_f64_e32 v[184:185], s[48:49], v[22:23]
	v_mul_f64_e32 v[186:187], s[48:49], v[237:238]
	;; [unrolled: 1-line block ×4, first 2 shown]
	v_add_f64_e32 v[40:41], v[188:189], v[40:41]
	v_add_f64_e32 v[42:43], v[180:181], v[42:43]
	v_mul_f64_e32 v[188:189], s[48:49], v[243:244]
	s_mov_b32 s49, 0x3fc7851a
	s_wait_alu 0xfffe
	v_mul_f64_e32 v[220:221], s[48:49], v[251:252]
	v_mul_f64_e32 v[222:223], s[48:49], v[208:209]
	v_add_f64_e32 v[40:41], v[160:161], v[40:41]
	v_add_f64_e32 v[42:43], v[44:45], v[42:43]
	v_mul_f64_e32 v[44:45], s[36:37], v[102:103]
	s_wait_loadcnt 0x0
	v_add_f64_e32 v[180:181], v[162:163], v[48:49]
	s_delay_alu instid0(VALU_DEP_4) | instskip(SKIP_1) | instid1(VALU_DEP_4)
	v_add_f64_e32 v[162:163], v[46:47], v[40:41]
	v_mul_f64_e32 v[40:41], s[36:37], v[243:244]
	v_fma_f64 v[46:47], v[228:229], s[24:25], v[44:45]
	v_mul_f64_e32 v[48:49], s[54:55], v[6:7]
	v_mul_f64_e32 v[6:7], s[52:53], v[6:7]
	v_add_f64_e32 v[160:161], v[180:181], v[42:43]
	v_fma_f64 v[42:43], v[230:231], s[24:25], -v[40:41]
	v_add_f64_e32 v[46:47], v[46:47], v[174:175]
	v_fma_f64 v[50:51], v[249:250], s[10:11], -v[48:49]
	s_delay_alu instid0(VALU_DEP_3) | instskip(SKIP_1) | instid1(VALU_DEP_1)
	v_add_f64_e32 v[42:43], v[42:43], v[172:173]
	v_fma_f64 v[172:173], v[235:236], s[34:35], -v[220:221]
	v_add_f64_e32 v[42:43], v[172:173], v[42:43]
	v_fma_f64 v[172:173], v[233:234], s[34:35], v[222:223]
	s_delay_alu instid0(VALU_DEP_1) | instskip(SKIP_1) | instid1(VALU_DEP_1)
	v_add_f64_e32 v[46:47], v[172:173], v[46:47]
	v_fma_f64 v[172:173], v[241:242], s[22:23], -v[224:225]
	v_add_f64_e32 v[42:43], v[172:173], v[42:43]
	v_fma_f64 v[172:173], v[239:240], s[22:23], v[226:227]
	s_delay_alu instid0(VALU_DEP_2) | instskip(SKIP_1) | instid1(VALU_DEP_3)
	v_add_f64_e32 v[42:43], v[50:51], v[42:43]
	v_mul_f64_e32 v[50:51], s[54:55], v[2:3]
	v_add_f64_e32 v[46:47], v[172:173], v[46:47]
	s_delay_alu instid0(VALU_DEP_3) | instskip(NEXT) | instid1(VALU_DEP_3)
	v_add_f64_e32 v[42:43], v[54:55], v[42:43]
	v_fma_f64 v[172:173], v[247:248], s[10:11], v[50:51]
	v_mul_f64_e32 v[54:55], s[14:15], v[12:13]
	s_delay_alu instid0(VALU_DEP_3) | instskip(NEXT) | instid1(VALU_DEP_3)
	v_add_f64_e32 v[42:43], v[58:59], v[42:43]
	v_add_f64_e32 v[46:47], v[172:173], v[46:47]
	s_delay_alu instid0(VALU_DEP_3) | instskip(SKIP_1) | instid1(VALU_DEP_2)
	v_fma_f64 v[172:173], v[108:109], s[2:3], v[54:55]
	v_mul_f64_e32 v[58:59], s[30:31], v[237:238]
	v_add_f64_e32 v[46:47], v[172:173], v[46:47]
	s_delay_alu instid0(VALU_DEP_2) | instskip(NEXT) | instid1(VALU_DEP_1)
	v_fma_f64 v[172:173], v[4:5], s[18:19], v[58:59]
	v_add_f64_e32 v[46:47], v[172:173], v[46:47]
	v_fma_f64 v[172:173], v[14:15], s[28:29], -v[100:101]
	s_delay_alu instid0(VALU_DEP_1) | instskip(SKIP_1) | instid1(VALU_DEP_1)
	v_add_f64_e32 v[174:175], v[172:173], v[42:43]
	v_mul_f64_e32 v[42:43], s[40:41], v[18:19]
	v_fma_f64 v[172:173], v[10:11], s[28:29], v[42:43]
	s_delay_alu instid0(VALU_DEP_1) | instskip(SKIP_1) | instid1(VALU_DEP_1)
	v_add_f64_e32 v[172:173], v[172:173], v[46:47]
	v_fma_f64 v[46:47], v[230:231], s[34:35], -v[188:189]
	v_add_f64_e32 v[46:47], v[46:47], v[176:177]
	v_fma_f64 v[176:177], v[228:229], s[34:35], v[196:197]
	s_delay_alu instid0(VALU_DEP_2) | instskip(SKIP_1) | instid1(VALU_DEP_3)
	v_add_f64_e32 v[46:47], v[62:63], v[46:47]
	v_mul_f64_e32 v[62:63], s[46:47], v[208:209]
	v_add_f64_e32 v[176:177], v[176:177], v[178:179]
	s_delay_alu instid0(VALU_DEP_3) | instskip(NEXT) | instid1(VALU_DEP_3)
	v_add_f64_e32 v[46:47], v[66:67], v[46:47]
	v_fma_f64 v[178:179], v[233:234], s[22:23], v[62:63]
	v_mul_f64_e32 v[66:67], s[50:51], v[253:254]
	s_delay_alu instid0(VALU_DEP_3) | instskip(NEXT) | instid1(VALU_DEP_3)
	v_add_f64_e32 v[46:47], v[70:71], v[46:47]
	v_add_f64_e32 v[176:177], v[178:179], v[176:177]
	s_delay_alu instid0(VALU_DEP_3)
	v_fma_f64 v[178:179], v[239:240], s[2:3], v[66:67]
	v_mul_f64_e32 v[70:71], s[26:27], v[2:3]
	v_mul_f64_e32 v[2:3], s[52:53], v[2:3]
	v_add_f64_e32 v[46:47], v[74:75], v[46:47]
	v_mul_f64_e32 v[74:75], s[40:41], v[12:13]
	v_add_f64_e32 v[176:177], v[178:179], v[176:177]
	v_fma_f64 v[178:179], v[247:248], s[20:21], v[70:71]
	s_delay_alu instid0(VALU_DEP_4) | instskip(SKIP_2) | instid1(VALU_DEP_4)
	v_add_f64_e32 v[46:47], v[78:79], v[46:47]
	v_mul_f64_e32 v[78:79], s[56:57], v[237:238]
	v_mul_f64_e32 v[237:238], s[14:15], v[237:238]
	v_add_f64_e32 v[176:177], v[178:179], v[176:177]
	v_fma_f64 v[178:179], v[108:109], s[28:29], v[74:75]
	s_delay_alu instid0(VALU_DEP_1) | instskip(SKIP_1) | instid1(VALU_DEP_1)
	v_add_f64_e32 v[176:177], v[178:179], v[176:177]
	v_fma_f64 v[178:179], v[4:5], s[24:25], v[78:79]
	v_add_f64_e32 v[176:177], v[178:179], v[176:177]
	v_add_f64_e32 v[178:179], v[82:83], v[46:47]
	v_mul_f64_e32 v[46:47], s[54:55], v[18:19]
	s_delay_alu instid0(VALU_DEP_1) | instskip(SKIP_1) | instid1(VALU_DEP_2)
	v_fma_f64 v[82:83], v[10:11], s[10:11], v[46:47]
	v_fma_f64 v[46:47], v[10:11], s[10:11], -v[46:47]
	v_add_f64_e32 v[176:177], v[82:83], v[176:177]
	v_mul_f64_e32 v[82:83], s[38:39], v[243:244]
	s_delay_alu instid0(VALU_DEP_1) | instskip(NEXT) | instid1(VALU_DEP_1)
	v_fma_f64 v[180:181], v[230:231], s[28:29], -v[82:83]
	v_add_f64_e32 v[180:181], v[180:181], v[214:215]
	v_mul_f64_e32 v[214:215], s[38:39], v[102:103]
	s_delay_alu instid0(VALU_DEP_1) | instskip(NEXT) | instid1(VALU_DEP_1)
	v_fma_f64 v[182:183], v[228:229], s[28:29], v[214:215]
	v_add_f64_e32 v[182:183], v[182:183], v[192:193]
	v_mul_f64_e32 v[192:193], s[54:55], v[251:252]
	s_delay_alu instid0(VALU_DEP_1) | instskip(NEXT) | instid1(VALU_DEP_1)
	v_fma_f64 v[206:207], v[235:236], s[10:11], -v[192:193]
	v_add_f64_e32 v[180:181], v[206:207], v[180:181]
	v_mul_f64_e32 v[206:207], s[54:55], v[208:209]
	s_delay_alu instid0(VALU_DEP_1) | instskip(NEXT) | instid1(VALU_DEP_1)
	v_fma_f64 v[194:195], v[233:234], s[10:11], v[206:207]
	v_add_f64_e32 v[182:183], v[194:195], v[182:183]
	v_mul_f64_e32 v[194:195], s[26:27], v[110:111]
	v_mul_f64_e32 v[110:111], s[40:41], v[110:111]
	s_delay_alu instid0(VALU_DEP_2) | instskip(NEXT) | instid1(VALU_DEP_1)
	v_fma_f64 v[204:205], v[241:242], s[20:21], -v[194:195]
	v_add_f64_e32 v[180:181], v[204:205], v[180:181]
	v_mul_f64_e32 v[204:205], s[26:27], v[253:254]
	s_delay_alu instid0(VALU_DEP_1) | instskip(NEXT) | instid1(VALU_DEP_1)
	v_fma_f64 v[216:217], v[239:240], s[20:21], v[204:205]
	v_add_f64_e32 v[182:183], v[216:217], v[182:183]
	v_fma_f64 v[216:217], v[249:250], s[34:35], -v[198:199]
	s_delay_alu instid0(VALU_DEP_1) | instskip(SKIP_1) | instid1(VALU_DEP_1)
	v_add_f64_e32 v[180:181], v[216:217], v[180:181]
	v_fma_f64 v[216:217], v[247:248], s[34:35], v[218:219]
	v_add_f64_e32 v[182:183], v[216:217], v[182:183]
	v_mul_f64_e32 v[216:217], s[52:53], v[16:17]
	s_delay_alu instid0(VALU_DEP_1) | instskip(NEXT) | instid1(VALU_DEP_1)
	v_fma_f64 v[202:203], v[0:1], s[18:19], -v[216:217]
	v_add_f64_e32 v[180:181], v[202:203], v[180:181]
	v_mul_f64_e32 v[202:203], s[52:53], v[12:13]
	v_mul_f64_e32 v[12:13], s[16:17], v[12:13]
	s_delay_alu instid0(VALU_DEP_2) | instskip(NEXT) | instid1(VALU_DEP_1)
	v_fma_f64 v[212:213], v[108:109], s[18:19], v[202:203]
	v_add_f64_e32 v[182:183], v[212:213], v[182:183]
	v_mul_f64_e32 v[212:213], s[14:15], v[22:23]
	s_delay_alu instid0(VALU_DEP_1) | instskip(NEXT) | instid1(VALU_DEP_1)
	v_fma_f64 v[22:23], v[8:9], s[2:3], -v[212:213]
	v_add_f64_e32 v[22:23], v[22:23], v[180:181]
	v_fma_f64 v[180:181], v[4:5], s[2:3], v[237:238]
	s_delay_alu instid0(VALU_DEP_1) | instskip(NEXT) | instid1(VALU_DEP_3)
	v_add_f64_e32 v[180:181], v[180:181], v[182:183]
	v_add_f64_e32 v[182:183], v[86:87], v[22:23]
	v_mul_f64_e32 v[86:87], s[36:37], v[18:19]
	s_delay_alu instid0(VALU_DEP_1) | instskip(NEXT) | instid1(VALU_DEP_1)
	v_fma_f64 v[22:23], v[10:11], s[24:25], v[86:87]
	v_add_f64_e32 v[180:181], v[22:23], v[180:181]
	v_mul_f64_e32 v[22:23], s[46:47], v[243:244]
	s_delay_alu instid0(VALU_DEP_1) | instskip(SKIP_1) | instid1(VALU_DEP_2)
	v_fma_f64 v[243:244], v[230:231], s[22:23], -v[22:23]
	v_fma_f64 v[22:23], v[230:231], s[22:23], v[22:23]
	v_add_f64_e32 v[210:211], v[243:244], v[210:211]
	v_mul_f64_e32 v[243:244], s[46:47], v[102:103]
	scratch_load_b64 v[102:103], off, off offset:504 th:TH_LOAD_LU ; 8-byte Folded Reload
	v_fma_f64 v[200:201], v[228:229], s[22:23], v[243:244]
	s_delay_alu instid0(VALU_DEP_1) | instskip(SKIP_1) | instid1(VALU_DEP_1)
	v_add_f64_e32 v[190:191], v[200:201], v[190:191]
	v_mul_f64_e32 v[200:201], s[14:15], v[251:252]
	v_fma_f64 v[251:252], v[235:236], s[2:3], -v[200:201]
	v_fma_f64 v[200:201], v[235:236], s[2:3], v[200:201]
	s_delay_alu instid0(VALU_DEP_2) | instskip(SKIP_1) | instid1(VALU_DEP_1)
	v_add_f64_e32 v[210:211], v[251:252], v[210:211]
	v_mul_f64_e32 v[251:252], s[14:15], v[208:209]
	v_fma_f64 v[208:209], v[233:234], s[2:3], v[251:252]
	s_delay_alu instid0(VALU_DEP_1) | instskip(SKIP_2) | instid1(VALU_DEP_2)
	v_add_f64_e32 v[190:191], v[208:209], v[190:191]
	v_fma_f64 v[208:209], v[241:242], s[28:29], -v[110:111]
	v_fma_f64 v[110:111], v[241:242], s[28:29], v[110:111]
	v_add_f64_e32 v[208:209], v[208:209], v[210:211]
	v_mul_f64_e32 v[210:211], s[40:41], v[253:254]
	s_delay_alu instid0(VALU_DEP_1)
	v_fma_f64 v[253:254], v[239:240], s[28:29], v[210:211]
	s_wait_loadcnt 0x0
	v_add_f64_e32 v[22:23], v[22:23], v[102:103]
	scratch_load_b64 v[102:103], off, off offset:496 th:TH_LOAD_LU ; 8-byte Folded Reload
	v_add_f64_e32 v[190:191], v[253:254], v[190:191]
	v_fma_f64 v[253:254], v[249:250], s[18:19], -v[6:7]
	v_fma_f64 v[6:7], v[249:250], s[18:19], v[6:7]
	v_add_f64_e32 v[22:23], v[200:201], v[22:23]
	v_fma_f64 v[200:201], v[233:234], s[2:3], -v[251:252]
	s_delay_alu instid0(VALU_DEP_4) | instskip(SKIP_4) | instid1(VALU_DEP_4)
	v_add_f64_e32 v[208:209], v[253:254], v[208:209]
	v_fma_f64 v[253:254], v[247:248], s[18:19], v[2:3]
	v_fma_f64 v[2:3], v[247:248], s[18:19], -v[2:3]
	v_add_f64_e32 v[22:23], v[110:111], v[22:23]
	v_fma_f64 v[110:111], v[239:240], s[28:29], -v[210:211]
	v_add_f64_e32 v[190:191], v[253:254], v[190:191]
	v_mul_f64_e32 v[253:254], s[16:17], v[16:17]
	s_delay_alu instid0(VALU_DEP_4) | instskip(NEXT) | instid1(VALU_DEP_2)
	v_add_f64_e32 v[6:7], v[6:7], v[22:23]
	v_fma_f64 v[16:17], v[0:1], s[10:11], -v[253:254]
	v_fma_f64 v[22:23], v[0:1], s[10:11], v[253:254]
	s_delay_alu instid0(VALU_DEP_2) | instskip(SKIP_2) | instid1(VALU_DEP_4)
	v_add_f64_e32 v[16:17], v[16:17], v[208:209]
	v_fma_f64 v[208:209], v[108:109], s[10:11], v[12:13]
	v_fma_f64 v[12:13], v[108:109], s[10:11], -v[12:13]
	v_add_f64_e32 v[6:7], v[22:23], v[6:7]
	s_delay_alu instid0(VALU_DEP_3) | instskip(SKIP_1) | instid1(VALU_DEP_1)
	v_add_f64_e32 v[190:191], v[208:209], v[190:191]
	v_fma_f64 v[208:209], v[8:9], s[34:35], -v[184:185]
	v_add_f64_e32 v[16:17], v[208:209], v[16:17]
	v_fma_f64 v[208:209], v[4:5], s[34:35], v[186:187]
	s_delay_alu instid0(VALU_DEP_1) | instskip(SKIP_2) | instid1(VALU_DEP_1)
	v_add_f64_e32 v[190:191], v[208:209], v[190:191]
	v_mul_f64_e32 v[208:209], s[42:43], v[18:19]
	v_fma_f64 v[18:19], v[14:15], s[20:21], -v[20:21]
	v_add_f64_e32 v[18:19], v[18:19], v[16:17]
	s_delay_alu instid0(VALU_DEP_3) | instskip(NEXT) | instid1(VALU_DEP_1)
	v_fma_f64 v[16:17], v[10:11], s[20:21], v[208:209]
	v_add_f64_e32 v[16:17], v[16:17], v[190:191]
	v_fma_f64 v[190:191], v[228:229], s[22:23], -v[243:244]
	s_wait_loadcnt 0x0
	s_delay_alu instid0(VALU_DEP_1) | instskip(NEXT) | instid1(VALU_DEP_1)
	v_add_f64_e32 v[190:191], v[190:191], v[102:103]
	v_add_f64_e32 v[190:191], v[200:201], v[190:191]
	s_delay_alu instid0(VALU_DEP_1) | instskip(NEXT) | instid1(VALU_DEP_1)
	v_add_f64_e32 v[110:111], v[110:111], v[190:191]
	v_add_f64_e32 v[2:3], v[2:3], v[110:111]
	s_delay_alu instid0(VALU_DEP_1) | instskip(SKIP_1) | instid1(VALU_DEP_1)
	v_add_f64_e32 v[2:3], v[12:13], v[2:3]
	v_fma_f64 v[12:13], v[8:9], s[34:35], v[184:185]
	v_add_f64_e32 v[6:7], v[12:13], v[6:7]
	v_fma_f64 v[12:13], v[4:5], s[34:35], -v[186:187]
	s_delay_alu instid0(VALU_DEP_1) | instskip(SKIP_2) | instid1(VALU_DEP_2)
	v_add_f64_e32 v[2:3], v[12:13], v[2:3]
	v_fma_f64 v[12:13], v[14:15], s[20:21], v[20:21]
	v_fma_f64 v[20:21], v[10:11], s[20:21], -v[208:209]
	v_add_f64_e32 v[22:23], v[12:13], v[6:7]
	s_clause 0x1
	scratch_load_b64 v[6:7], off, off offset:488 th:TH_LOAD_LU
	scratch_load_b64 v[12:13], off, off offset:480 th:TH_LOAD_LU
	v_add_f64_e32 v[20:21], v[20:21], v[2:3]
	v_fma_f64 v[2:3], v[230:231], s[28:29], v[82:83]
	v_fma_f64 v[82:83], v[10:11], s[24:25], -v[86:87]
	s_wait_loadcnt 0x1
	s_delay_alu instid0(VALU_DEP_2) | instskip(SKIP_2) | instid1(VALU_DEP_1)
	v_add_f64_e32 v[2:3], v[2:3], v[6:7]
	v_fma_f64 v[6:7], v[228:229], s[28:29], -v[214:215]
	s_wait_loadcnt 0x0
	v_add_f64_e32 v[6:7], v[6:7], v[12:13]
	v_fma_f64 v[12:13], v[235:236], s[10:11], v[192:193]
	s_delay_alu instid0(VALU_DEP_1) | instskip(SKIP_1) | instid1(VALU_DEP_1)
	v_add_f64_e32 v[2:3], v[12:13], v[2:3]
	v_fma_f64 v[12:13], v[233:234], s[10:11], -v[206:207]
	v_add_f64_e32 v[6:7], v[12:13], v[6:7]
	v_fma_f64 v[12:13], v[241:242], s[20:21], v[194:195]
	s_delay_alu instid0(VALU_DEP_1) | instskip(SKIP_1) | instid1(VALU_DEP_1)
	v_add_f64_e32 v[2:3], v[12:13], v[2:3]
	v_fma_f64 v[12:13], v[239:240], s[20:21], -v[204:205]
	;; [unrolled: 5-line block ×5, first 2 shown]
	v_add_f64_e32 v[6:7], v[12:13], v[6:7]
	v_fma_f64 v[12:13], v[14:15], s[24:25], v[84:85]
	s_delay_alu instid0(VALU_DEP_2)
	v_add_f64_e32 v[184:185], v[82:83], v[6:7]
	scratch_load_b64 v[6:7], off, off offset:472 th:TH_LOAD_LU ; 8-byte Folded Reload
	v_add_f64_e32 v[186:187], v[12:13], v[2:3]
	scratch_load_b64 v[12:13], off, off offset:464 th:TH_LOAD_LU ; 8-byte Folded Reload
	v_fma_f64 v[2:3], v[230:231], s[34:35], v[188:189]
	s_wait_loadcnt 0x1
	s_delay_alu instid0(VALU_DEP_1) | instskip(SKIP_2) | instid1(VALU_DEP_1)
	v_add_f64_e32 v[2:3], v[2:3], v[6:7]
	v_fma_f64 v[6:7], v[228:229], s[34:35], -v[196:197]
	s_wait_loadcnt 0x0
	v_add_f64_e32 v[6:7], v[6:7], v[12:13]
	v_fma_f64 v[12:13], v[235:236], s[22:23], v[60:61]
	s_delay_alu instid0(VALU_DEP_1) | instskip(SKIP_1) | instid1(VALU_DEP_1)
	v_add_f64_e32 v[2:3], v[12:13], v[2:3]
	v_fma_f64 v[12:13], v[233:234], s[22:23], -v[62:63]
	v_add_f64_e32 v[6:7], v[12:13], v[6:7]
	v_fma_f64 v[12:13], v[241:242], s[2:3], v[64:65]
	s_delay_alu instid0(VALU_DEP_1) | instskip(SKIP_1) | instid1(VALU_DEP_1)
	v_add_f64_e32 v[2:3], v[12:13], v[2:3]
	v_fma_f64 v[12:13], v[239:240], s[2:3], -v[66:67]
	;; [unrolled: 5-line block ×3, first 2 shown]
	v_add_f64_e32 v[6:7], v[12:13], v[6:7]
	v_fma_f64 v[12:13], v[0:1], s[28:29], v[72:73]
	v_fma_f64 v[0:1], v[0:1], s[2:3], v[52:53]
	s_delay_alu instid0(VALU_DEP_2) | instskip(SKIP_1) | instid1(VALU_DEP_1)
	v_add_f64_e32 v[2:3], v[12:13], v[2:3]
	v_fma_f64 v[12:13], v[108:109], s[28:29], -v[74:75]
	v_add_f64_e32 v[6:7], v[12:13], v[6:7]
	v_fma_f64 v[12:13], v[8:9], s[24:25], v[76:77]
	v_fma_f64 v[8:9], v[8:9], s[18:19], v[56:57]
	s_delay_alu instid0(VALU_DEP_2) | instskip(SKIP_1) | instid1(VALU_DEP_1)
	v_add_f64_e32 v[2:3], v[12:13], v[2:3]
	v_fma_f64 v[12:13], v[4:5], s[24:25], -v[78:79]
	v_add_f64_e32 v[6:7], v[12:13], v[6:7]
	v_fma_f64 v[12:13], v[14:15], s[10:11], v[80:81]
	s_delay_alu instid0(VALU_DEP_2) | instskip(NEXT) | instid1(VALU_DEP_2)
	v_add_f64_e32 v[188:189], v[46:47], v[6:7]
	v_add_f64_e32 v[190:191], v[12:13], v[2:3]
	v_fma_f64 v[2:3], v[230:231], s[24:25], v[40:41]
	v_fma_f64 v[6:7], v[228:229], s[24:25], -v[44:45]
	s_clause 0x1
	scratch_load_b64 v[40:41], off, off offset:456 th:TH_LOAD_LU
	scratch_load_b64 v[44:45], off, off offset:448 th:TH_LOAD_LU
	v_fma_f64 v[12:13], v[235:236], s[34:35], v[220:221]
	s_wait_loadcnt 0x1
	v_add_f64_e32 v[2:3], v[2:3], v[40:41]
	v_fma_f64 v[40:41], v[233:234], s[34:35], -v[222:223]
	s_wait_loadcnt 0x0
	v_add_f64_e32 v[6:7], v[6:7], v[44:45]
	v_fma_f64 v[44:45], v[241:242], s[22:23], v[224:225]
	s_delay_alu instid0(VALU_DEP_4) | instskip(SKIP_1) | instid1(VALU_DEP_4)
	v_add_f64_e32 v[2:3], v[12:13], v[2:3]
	v_fma_f64 v[12:13], v[239:240], s[22:23], -v[226:227]
	v_add_f64_e32 v[6:7], v[40:41], v[6:7]
	v_fma_f64 v[40:41], v[249:250], s[10:11], v[48:49]
	s_delay_alu instid0(VALU_DEP_4) | instskip(SKIP_1) | instid1(VALU_DEP_4)
	v_add_f64_e32 v[2:3], v[44:45], v[2:3]
	v_fma_f64 v[44:45], v[247:248], s[10:11], -v[50:51]
	v_add_f64_e32 v[6:7], v[12:13], v[6:7]
	v_fma_f64 v[12:13], v[108:109], s[2:3], -v[54:55]
	s_delay_alu instid0(VALU_DEP_4) | instskip(NEXT) | instid1(VALU_DEP_3)
	v_add_f64_e32 v[2:3], v[40:41], v[2:3]
	v_add_f64_e32 v[6:7], v[44:45], v[6:7]
	s_delay_alu instid0(VALU_DEP_2) | instskip(SKIP_1) | instid1(VALU_DEP_3)
	v_add_f64_e32 v[0:1], v[0:1], v[2:3]
	v_fma_f64 v[2:3], v[4:5], s[18:19], -v[58:59]
	v_add_f64_e32 v[4:5], v[12:13], v[6:7]
	v_fma_f64 v[6:7], v[14:15], s[28:29], v[100:101]
	s_delay_alu instid0(VALU_DEP_4) | instskip(SKIP_1) | instid1(VALU_DEP_4)
	v_add_f64_e32 v[0:1], v[8:9], v[0:1]
	v_fma_f64 v[8:9], v[10:11], s[28:29], -v[42:43]
	v_add_f64_e32 v[4:5], v[2:3], v[4:5]
	s_delay_alu instid0(VALU_DEP_3) | instskip(NEXT) | instid1(VALU_DEP_2)
	v_add_f64_e32 v[2:3], v[6:7], v[0:1]
	v_add_f64_e32 v[0:1], v[8:9], v[4:5]
	v_mul_lo_u16 v4, v246, 17
	s_delay_alu instid0(VALU_DEP_1) | instskip(NEXT) | instid1(VALU_DEP_1)
	v_and_b32_e32 v4, 0xffff, v4
	v_lshlrev_b32_e32 v4, 4, v4
	ds_store_b128 v4, v[152:155]
	ds_store_b128 v4, v[36:39] offset:16
	ds_store_b128 v4, v[160:163] offset:32
	;; [unrolled: 1-line block ×16, first 2 shown]
.LBB0_17:
	s_wait_alu 0xfffe
	s_or_b32 exec_lo, exec_lo, s1
	global_wb scope:SCOPE_SE
	s_wait_storecnt_dscnt 0x0
	s_barrier_signal -1
	s_barrier_wait -1
	global_inv scope:SCOPE_SE
	ds_load_b128 v[0:3], v232 offset:8160
	ds_load_b128 v[4:7], v232 offset:16320
	;; [unrolled: 1-line block ×11, first 2 shown]
	s_clause 0x3
	scratch_load_b128 v[158:161], off, off offset:96 th:TH_LOAD_LU
	scratch_load_b128 v[80:83], off, off offset:16 th:TH_LOAD_LU
	;; [unrolled: 1-line block ×4, first 2 shown]
	s_mov_b32 s10, 0xe8584caa
	s_mov_b32 s11, 0xbfebb67a
	s_mov_b32 s3, 0x3febb67a
	s_wait_alu 0xfffe
	s_mov_b32 s2, s10
	scratch_load_b128 v[172:175], off, off offset:128 th:TH_LOAD_LU ; 16-byte Folded Reload
	s_wait_loadcnt_dscnt 0x309
	v_mul_f64_e32 v[44:45], v[82:83], v[6:7]
	v_mul_f64_e32 v[46:47], v[82:83], v[4:5]
	scratch_load_b128 v[82:85], off, off offset:32 th:TH_LOAD_LU ; 16-byte Folded Reload
	s_wait_loadcnt_dscnt 0x207
	v_mul_f64_e32 v[52:53], v[154:155], v[14:15]
	v_mul_f64_e32 v[54:55], v[154:155], v[12:13]
	scratch_load_b128 v[154:157], off, off offset:80 th:TH_LOAD_LU ; 16-byte Folded Reload
	v_mul_f64_e32 v[40:41], v[160:161], v[2:3]
	v_mul_f64_e32 v[42:43], v[160:161], v[0:1]
	scratch_load_b128 v[160:163], off, off offset:112 th:TH_LOAD_LU ; 16-byte Folded Reload
	s_wait_dscnt 0x3
	v_mul_f64_e32 v[66:67], v[102:103], v[30:31]
	v_mul_f64_e32 v[70:71], v[102:103], v[28:29]
	s_wait_loadcnt 0x3
	v_mul_f64_e32 v[56:57], v[174:175], v[18:19]
	v_mul_f64_e32 v[58:59], v[174:175], v[16:17]
	scratch_load_b128 v[174:177], off, off offset:160 th:TH_LOAD_LU ; 16-byte Folded Reload
	v_fma_f64 v[44:45], v[80:81], v[4:5], v[44:45]
	v_fma_f64 v[46:47], v[80:81], v[6:7], -v[46:47]
	ds_load_b128 v[4:7], v232 offset:1632
	v_fma_f64 v[52:53], v[152:153], v[12:13], v[52:53]
	v_fma_f64 v[54:55], v[152:153], v[14:15], -v[54:55]
	v_fma_f64 v[40:41], v[158:159], v[0:1], v[40:41]
	v_fma_f64 v[42:43], v[158:159], v[2:3], -v[42:43]
	ds_load_b128 v[0:3], v232
	v_fma_f64 v[28:29], v[100:101], v[28:29], v[66:67]
	v_fma_f64 v[30:31], v[100:101], v[30:31], -v[70:71]
	v_fma_f64 v[16:17], v[172:173], v[16:17], v[56:57]
	v_fma_f64 v[18:19], v[172:173], v[18:19], -v[58:59]
	v_add_f64_e32 v[56:57], v[40:41], v[44:45]
	v_add_f64_e32 v[58:59], v[42:43], v[46:47]
	s_wait_dscnt 0x0
	s_delay_alu instid0(VALU_DEP_2) | instskip(NEXT) | instid1(VALU_DEP_2)
	v_fma_f64 v[56:57], v[56:57], -0.5, v[0:1]
	v_fma_f64 v[58:59], v[58:59], -0.5, v[2:3]
	s_wait_loadcnt 0x3
	v_mul_f64_e32 v[64:65], v[84:85], v[26:27]
	v_mul_f64_e32 v[68:69], v[84:85], v[24:25]
	scratch_load_b128 v[84:87], off, off offset:144 th:TH_LOAD_LU ; 16-byte Folded Reload
	s_wait_loadcnt 0x3
	v_mul_f64_e32 v[60:61], v[156:157], v[22:23]
	v_mul_f64_e32 v[62:63], v[156:157], v[20:21]
	s_wait_loadcnt 0x2
	v_mul_f64_e32 v[48:49], v[162:163], v[10:11]
	v_mul_f64_e32 v[50:51], v[162:163], v[8:9]
	;; [unrolled: 3-line block ×3, first 2 shown]
	v_fma_f64 v[24:25], v[82:83], v[24:25], v[64:65]
	v_fma_f64 v[26:27], v[82:83], v[26:27], -v[68:69]
	v_fma_f64 v[20:21], v[154:155], v[20:21], v[60:61]
	v_fma_f64 v[22:23], v[154:155], v[22:23], -v[62:63]
	;; [unrolled: 2-line block ×3, first 2 shown]
	ds_load_b128 v[8:11], v232 offset:3264
	ds_load_b128 v[12:15], v232 offset:4896
	global_wb scope:SCOPE_SE
	s_wait_loadcnt_dscnt 0x0
	s_barrier_signal -1
	s_barrier_wait -1
	global_inv scope:SCOPE_SE
	v_fma_f64 v[32:33], v[174:175], v[32:33], v[72:73]
	v_fma_f64 v[34:35], v[174:175], v[34:35], -v[76:77]
	v_add_f64_e32 v[76:77], v[0:1], v[40:41]
	v_add_f64_e64 v[40:41], v[40:41], -v[44:45]
	v_add_f64_e32 v[68:69], v[24:25], v[28:29]
	v_add_f64_e32 v[70:71], v[26:27], v[30:31]
	;; [unrolled: 1-line block ×5, first 2 shown]
	v_add_f64_e64 v[160:161], v[18:19], -v[22:23]
	v_add_f64_e32 v[60:61], v[48:49], v[52:53]
	v_add_f64_e32 v[62:63], v[50:51], v[54:55]
	;; [unrolled: 1-line block ×3, first 2 shown]
	v_add_f64_e64 v[50:51], v[50:51], -v[54:55]
	v_add_f64_e64 v[162:163], v[16:17], -v[20:21]
	v_add_f64_e32 v[80:81], v[4:5], v[48:49]
	v_add_f64_e64 v[48:49], v[48:49], -v[52:53]
	v_add_f64_e32 v[154:155], v[14:15], v[26:27]
	v_add_f64_e64 v[26:27], v[26:27], -v[30:31]
	v_add_f64_e64 v[24:25], v[24:25], -v[28:29]
	v_add_f64_e32 v[156:157], v[108:109], v[32:33]
	v_add_f64_e32 v[158:159], v[110:111], v[34:35]
	;; [unrolled: 1-line block ×3, first 2 shown]
	v_fma_f64 v[68:69], v[68:69], -0.5, v[12:13]
	v_fma_f64 v[70:71], v[70:71], -0.5, v[14:15]
	v_add_f64_e32 v[12:13], v[152:153], v[28:29]
	v_fma_f64 v[64:65], v[64:65], -0.5, v[8:9]
	v_fma_f64 v[66:67], v[66:67], -0.5, v[10:11]
	;; [unrolled: 1-line block ×4, first 2 shown]
	v_add_f64_e32 v[6:7], v[82:83], v[54:55]
	v_add_f64_e32 v[4:5], v[80:81], v[52:53]
	;; [unrolled: 1-line block ×3, first 2 shown]
	v_fma_f64 v[52:53], v[26:27], s[10:11], v[68:69]
	s_wait_alu 0xfffe
	v_fma_f64 v[54:55], v[24:25], s[2:3], v[70:71]
	v_fma_f64 v[44:45], v[160:161], s[10:11], v[64:65]
	v_mul_f64_e32 v[74:75], v[86:87], v[38:39]
	v_mul_f64_e32 v[78:79], v[86:87], v[36:37]
	v_add_f64_e32 v[86:87], v[10:11], v[18:19]
	v_fma_f64 v[18:19], v[40:41], s[2:3], v[58:59]
	s_delay_alu instid0(VALU_DEP_4) | instskip(NEXT) | instid1(VALU_DEP_4)
	v_fma_f64 v[36:37], v[84:85], v[36:37], v[74:75]
	v_fma_f64 v[38:39], v[84:85], v[38:39], -v[78:79]
	v_add_f64_e32 v[84:85], v[8:9], v[16:17]
	v_add_f64_e64 v[78:79], v[42:43], -v[46:47]
	v_add_f64_e32 v[42:43], v[2:3], v[42:43]
	v_add_f64_e32 v[10:11], v[86:87], v[22:23]
	;; [unrolled: 1-line block ×4, first 2 shown]
	v_add_f64_e64 v[172:173], v[34:35], -v[38:39]
	v_add_f64_e32 v[8:9], v[84:85], v[20:21]
	v_fma_f64 v[34:35], v[40:41], s[10:11], v[58:59]
	v_fma_f64 v[40:41], v[50:51], s[2:3], v[60:61]
	v_add_f64_e32 v[2:3], v[42:43], v[46:47]
	v_fma_f64 v[16:17], v[78:79], s[10:11], v[56:57]
	v_fma_f64 v[42:43], v[48:49], s[10:11], v[62:63]
	;; [unrolled: 1-line block ×4, first 2 shown]
	v_add_f64_e32 v[20:21], v[156:157], v[36:37]
	v_add_f64_e32 v[22:23], v[158:159], v[38:39]
	v_fma_f64 v[38:39], v[48:49], s[2:3], v[62:63]
	v_fma_f64 v[48:49], v[160:161], s[2:3], v[64:65]
	v_fma_f64 v[72:73], v[72:73], -0.5, v[108:109]
	v_add_f64_e64 v[108:109], v[32:33], -v[36:37]
	v_fma_f64 v[36:37], v[50:51], s[10:11], v[60:61]
	scratch_load_b32 v60, off, off offset:192 th:TH_LOAD_LU ; 4-byte Folded Reload
	v_fma_f64 v[32:33], v[78:79], s[2:3], v[56:57]
	v_fma_f64 v[50:51], v[162:163], s[10:11], v[66:67]
	;; [unrolled: 1-line block ×3, first 2 shown]
	v_fma_f64 v[74:75], v[74:75], -0.5, v[110:111]
	s_wait_loadcnt 0x0
	ds_store_b128 v60, v[0:3]
	ds_store_b128 v60, v[16:19] offset:272
	ds_store_b128 v60, v[32:35] offset:544
	scratch_load_b32 v0, off, off offset:188 th:TH_LOAD_LU ; 4-byte Folded Reload
	v_fma_f64 v[24:25], v[172:173], s[10:11], v[72:73]
	v_fma_f64 v[26:27], v[108:109], s[2:3], v[74:75]
	;; [unrolled: 1-line block ×4, first 2 shown]
	s_wait_loadcnt 0x0
	ds_store_b128 v0, v[4:7]
	ds_store_b128 v0, v[36:39] offset:272
	ds_store_b128 v0, v[40:43] offset:544
	scratch_load_b32 v0, off, off offset:184 th:TH_LOAD_LU ; 4-byte Folded Reload
	s_wait_loadcnt 0x0
	ds_store_b128 v0, v[8:11]
	ds_store_b128 v0, v[44:47] offset:272
	ds_store_b128 v0, v[48:51] offset:544
	scratch_load_b32 v0, off, off offset:180 th:TH_LOAD_LU ; 4-byte Folded Reload
	;; [unrolled: 5-line block ×3, first 2 shown]
	s_wait_loadcnt 0x0
	ds_store_b128 v0, v[20:23]
	ds_store_b128 v0, v[24:27] offset:272
	ds_store_b128 v0, v[28:31] offset:544
	global_wb scope:SCOPE_SE
	s_wait_dscnt 0x0
	s_barrier_signal -1
	s_barrier_wait -1
	global_inv scope:SCOPE_SE
	ds_load_b128 v[36:39], v232
	ds_load_b128 v[32:35], v232 offset:1632
	ds_load_b128 v[48:51], v232 offset:4080
	ds_load_b128 v[40:43], v232 offset:5712
	ds_load_b128 v[56:59], v232 offset:8160
	ds_load_b128 v[44:47], v232 offset:9792
	ds_load_b128 v[172:175], v232 offset:12240
	ds_load_b128 v[156:159], v232 offset:13872
	ds_load_b128 v[152:155], v232 offset:16320
	ds_load_b128 v[52:55], v232 offset:17952
	ds_load_b128 v[176:179], v232 offset:20400
	ds_load_b128 v[160:163], v232 offset:22032
	s_and_saveexec_b32 s1, s0
	s_cbranch_execz .LBB0_19
; %bb.18:
	ds_load_b128 v[20:23], v232 offset:3264
	ds_load_b128 v[24:27], v232 offset:7344
	;; [unrolled: 1-line block ×6, first 2 shown]
	s_wait_dscnt 0x0
	scratch_store_b128 off, v[0:3], off     ; 16-byte Folded Spill
.LBB0_19:
	s_wait_alu 0xfffe
	s_or_b32 exec_lo, exec_lo, s1
	s_clause 0x7
	scratch_load_b128 v[72:75], off, off offset:324 th:TH_LOAD_LU
	scratch_load_b128 v[76:79], off, off offset:340 th:TH_LOAD_LU
	;; [unrolled: 1-line block ×8, first 2 shown]
	s_wait_loadcnt_dscnt 0x705
	v_mul_f64_e32 v[0:1], v[74:75], v[172:173]
	s_wait_loadcnt_dscnt 0x601
	v_mul_f64_e32 v[2:3], v[78:79], v[176:177]
	v_mul_f64_e32 v[12:13], v[78:79], v[178:179]
	s_wait_loadcnt 0x4
	v_mul_f64_e32 v[14:15], v[82:83], v[40:41]
	v_mul_f64_e32 v[70:71], v[82:83], v[42:43]
	scratch_load_b128 v[82:85], off, off offset:212 th:TH_LOAD_LU ; 16-byte Folded Reload
	s_wait_loadcnt 0x4
	v_mul_f64_e32 v[4:5], v[188:189], v[156:157]
	s_wait_loadcnt_dscnt 0x300
	v_mul_f64_e32 v[6:7], v[192:193], v[160:161]
	v_mul_f64_e32 v[8:9], v[102:103], v[48:49]
	;; [unrolled: 1-line block ×6, first 2 shown]
	s_wait_loadcnt 0x1
	v_mul_f64_e32 v[74:75], v[110:111], v[44:45]
	v_fma_f64 v[0:1], v[72:73], v[174:175], -v[0:1]
	v_fma_f64 v[2:3], v[76:77], v[178:179], -v[2:3]
	scratch_load_b128 v[178:181], off, off offset:260 th:TH_LOAD_LU ; 16-byte Folded Reload
	v_mul_f64_e32 v[62:63], v[184:185], v[58:59]
	v_mul_f64_e32 v[64:65], v[184:185], v[56:57]
	v_fma_f64 v[12:13], v[76:77], v[176:177], v[12:13]
	v_fma_f64 v[4:5], v[186:187], v[158:159], -v[4:5]
	v_fma_f64 v[6:7], v[190:191], v[162:163], -v[6:7]
	;; [unrolled: 1-line block ×3, first 2 shown]
	v_fma_f64 v[10:11], v[72:73], v[172:173], v[10:11]
	v_mul_f64_e32 v[72:73], v[110:111], v[46:47]
	v_fma_f64 v[16:17], v[186:187], v[156:157], v[16:17]
	v_fma_f64 v[18:19], v[190:191], v[160:161], v[18:19]
	v_fma_f64 v[14:15], v[80:81], v[42:43], -v[14:15]
	v_fma_f64 v[48:49], v[100:101], v[48:49], v[60:61]
	v_fma_f64 v[46:47], v[108:109], v[46:47], -v[74:75]
	v_fma_f64 v[40:41], v[80:81], v[40:41], v[70:71]
	global_wb scope:SCOPE_SE
	s_wait_loadcnt 0x0
	s_wait_storecnt 0x0
	s_barrier_signal -1
	s_barrier_wait -1
	global_inv scope:SCOPE_SE
	v_add_f64_e32 v[50:51], v[0:1], v[2:3]
	v_fma_f64 v[56:57], v[182:183], v[56:57], v[62:63]
	v_fma_f64 v[58:59], v[182:183], v[58:59], -v[64:65]
	v_add_f64_e32 v[42:43], v[4:5], v[6:7]
	v_add_f64_e32 v[60:61], v[10:11], v[12:13]
	v_fma_f64 v[44:45], v[108:109], v[44:45], v[72:73]
	v_add_f64_e64 v[70:71], v[16:17], -v[18:19]
	v_fma_f64 v[50:51], v[50:51], -0.5, v[8:9]
	v_fma_f64 v[42:43], v[42:43], -0.5, v[14:15]
	;; [unrolled: 1-line block ×3, first 2 shown]
	v_mul_f64_e32 v[76:77], v[84:85], v[54:55]
	v_mul_f64_e32 v[78:79], v[84:85], v[52:53]
	s_delay_alu instid0(VALU_DEP_4)
	v_fma_f64 v[84:85], v[70:71], s[2:3], v[42:43]
	v_fma_f64 v[42:43], v[70:71], s[10:11], v[42:43]
	v_add_f64_e32 v[70:71], v[36:37], v[56:57]
	v_mul_f64_e32 v[66:67], v[180:181], v[154:155]
	v_mul_f64_e32 v[68:69], v[180:181], v[152:153]
	v_fma_f64 v[52:53], v[82:83], v[52:53], v[76:77]
	v_fma_f64 v[54:55], v[82:83], v[54:55], -v[78:79]
	v_add_f64_e64 v[76:77], v[0:1], -v[2:3]
	v_add_f64_e64 v[82:83], v[4:5], -v[6:7]
	v_add_f64_e32 v[4:5], v[14:15], v[4:5]
	v_add_f64_e32 v[0:1], v[8:9], v[0:1]
	;; [unrolled: 1-line block ×3, first 2 shown]
	v_fma_f64 v[62:63], v[178:179], v[152:153], v[66:67]
	v_fma_f64 v[64:65], v[178:179], v[154:155], -v[68:69]
	v_add_f64_e64 v[66:67], v[10:11], -v[12:13]
	v_add_f64_e32 v[68:69], v[16:17], v[18:19]
	v_add_f64_e32 v[16:17], v[40:41], v[16:17]
	;; [unrolled: 1-line block ×3, first 2 shown]
	v_add_f64_e64 v[48:49], v[46:47], -v[54:55]
	v_add_f64_e32 v[80:81], v[46:47], v[54:55]
	v_add_f64_e32 v[46:47], v[34:35], v[46:47]
	;; [unrolled: 1-line block ×4, first 2 shown]
	v_fma_f64 v[78:79], v[66:67], s[2:3], v[50:51]
	v_fma_f64 v[50:51], v[66:67], s[10:11], v[50:51]
	v_add_f64_e32 v[66:67], v[44:45], v[52:53]
	v_fma_f64 v[68:69], v[68:69], -0.5, v[40:41]
	v_add_f64_e64 v[86:87], v[58:59], -v[64:65]
	v_add_f64_e32 v[58:59], v[38:39], v[58:59]
	v_add_f64_e64 v[56:57], v[56:57], -v[62:63]
	v_fma_f64 v[40:41], v[76:77], s[2:3], v[60:61]
	v_add_f64_e32 v[62:63], v[70:71], v[62:63]
	v_add_f64_e32 v[10:11], v[10:11], v[12:13]
	;; [unrolled: 1-line block ×3, first 2 shown]
	v_add_f64_e64 v[44:45], v[44:45], -v[52:53]
	v_add_f64_e32 v[52:53], v[8:9], v[52:53]
	v_add_f64_e32 v[46:47], v[46:47], v[54:55]
	;; [unrolled: 1-line block ×4, first 2 shown]
	v_fma_f64 v[34:35], v[80:81], -0.5, v[34:35]
	v_mul_f64_e32 v[80:81], 0.5, v[84:85]
	v_fma_f64 v[14:15], v[72:73], -0.5, v[36:37]
	v_fma_f64 v[36:37], v[74:75], -0.5, v[38:39]
	v_fma_f64 v[38:39], v[76:77], s[10:11], v[60:61]
	v_mul_f64_e32 v[60:61], s[10:11], v[78:79]
	v_mul_f64_e32 v[72:73], s[10:11], v[50:51]
	v_mul_f64_e32 v[74:75], 0.5, v[78:79]
	v_mul_f64_e32 v[50:51], -0.5, v[50:51]
	v_fma_f64 v[32:33], v[66:67], -0.5, v[32:33]
	v_add_f64_e32 v[58:59], v[58:59], v[64:65]
	v_fma_f64 v[66:67], v[82:83], s[10:11], v[68:69]
	v_fma_f64 v[68:69], v[82:83], s[2:3], v[68:69]
	v_mul_f64_e32 v[78:79], s[10:11], v[42:43]
	v_mul_f64_e32 v[42:43], -0.5, v[42:43]
	v_add_f64_e32 v[0:1], v[62:63], v[10:11]
	v_add_f64_e64 v[4:5], v[62:63], -v[10:11]
	v_mul_f64_e32 v[76:77], s[10:11], v[84:85]
	v_add_f64_e32 v[8:9], v[52:53], v[16:17]
	v_add_f64_e32 v[10:11], v[46:47], v[18:19]
	v_fma_f64 v[82:83], v[44:45], s[2:3], v[34:35]
	v_fma_f64 v[84:85], v[44:45], s[10:11], v[34:35]
	;; [unrolled: 1-line block ×5, first 2 shown]
	v_fma_f64 v[36:37], v[38:39], 0.5, v[60:61]
	v_fma_f64 v[60:61], v[40:41], -0.5, v[72:73]
	v_fma_f64 v[38:39], v[38:39], s[2:3], v[74:75]
	v_fma_f64 v[50:51], v[40:41], s[2:3], v[50:51]
	v_fma_f64 v[72:73], v[48:49], s[10:11], v[32:33]
	v_fma_f64 v[74:75], v[48:49], s[2:3], v[32:33]
	v_fma_f64 v[54:55], v[86:87], s[10:11], v[14:15]
	v_add_f64_e32 v[2:3], v[58:59], v[12:13]
	v_add_f64_e64 v[6:7], v[58:59], -v[12:13]
	v_add_f64_e64 v[12:13], v[52:53], -v[16:17]
	;; [unrolled: 1-line block ×3, first 2 shown]
	v_fma_f64 v[78:79], v[68:69], -0.5, v[78:79]
	v_fma_f64 v[68:69], v[68:69], s[2:3], v[42:43]
	v_fma_f64 v[76:77], v[66:67], 0.5, v[76:77]
	v_fma_f64 v[66:67], v[66:67], s[2:3], v[80:81]
	v_add_f64_e32 v[32:33], v[64:65], v[60:61]
	v_add_f64_e64 v[40:41], v[64:65], -v[60:61]
	scratch_load_b32 v60, off, off offset:376 th:TH_LOAD_LU ; 4-byte Folded Reload
	v_add_f64_e32 v[18:19], v[70:71], v[38:39]
	v_add_f64_e32 v[34:35], v[56:57], v[50:51]
	;; [unrolled: 1-line block ×3, first 2 shown]
	v_add_f64_e64 v[36:37], v[54:55], -v[36:37]
	v_add_f64_e64 v[38:39], v[70:71], -v[38:39]
	;; [unrolled: 1-line block ×3, first 2 shown]
	s_wait_loadcnt 0x0
	ds_store_b128 v60, v[0:3]
	ds_store_b128 v60, v[16:19] offset:816
	ds_store_b128 v60, v[32:35] offset:1632
	;; [unrolled: 1-line block ×5, first 2 shown]
	scratch_load_b32 v0, off, off offset:380 th:TH_LOAD_LU ; 4-byte Folded Reload
	v_add_f64_e32 v[44:45], v[72:73], v[76:77]
	v_add_f64_e32 v[46:47], v[82:83], v[66:67]
	;; [unrolled: 1-line block ×4, first 2 shown]
	v_add_f64_e64 v[52:53], v[72:73], -v[76:77]
	v_add_f64_e64 v[54:55], v[82:83], -v[66:67]
	;; [unrolled: 1-line block ×4, first 2 shown]
	s_wait_loadcnt 0x0
	ds_store_b128 v0, v[8:11]
	ds_store_b128 v0, v[44:47] offset:816
	ds_store_b128 v0, v[48:51] offset:1632
	;; [unrolled: 1-line block ×5, first 2 shown]
	s_and_saveexec_b32 s1, s0
	s_cbranch_execz .LBB0_21
; %bb.20:
	s_clause 0x2
	scratch_load_b128 v[40:43], off, off th:TH_LOAD_LU
	scratch_load_b128 v[32:35], off, off offset:384 th:TH_LOAD_LU
	scratch_load_b128 v[36:39], off, off offset:400 th:TH_LOAD_LU
	v_mul_f64_e32 v[0:1], v[90:91], v[168:169]
	v_mul_f64_e32 v[4:5], v[90:91], v[170:171]
	;; [unrolled: 1-line block ×4, first 2 shown]
	s_mov_b32 s2, 0xe8584caa
	s_mov_b32 s3, 0xbfebb67a
	;; [unrolled: 1-line block ×3, first 2 shown]
	s_wait_alu 0xfffe
	s_mov_b32 s10, s2
	s_delay_alu instid0(VALU_DEP_4) | instskip(NEXT) | instid1(VALU_DEP_4)
	v_fma_f64 v[0:1], v[88:89], v[170:171], -v[0:1]
	v_fma_f64 v[4:5], v[88:89], v[168:169], v[4:5]
	s_delay_alu instid0(VALU_DEP_4) | instskip(NEXT) | instid1(VALU_DEP_4)
	v_fma_f64 v[8:9], v[92:93], v[26:27], -v[8:9]
	v_fma_f64 v[18:19], v[92:93], v[24:25], v[18:19]
	s_wait_loadcnt 0x2
	v_mul_f64_e32 v[2:3], v[98:99], v[40:41]
	v_mul_f64_e32 v[6:7], v[98:99], v[42:43]
	s_wait_loadcnt 0x0
	v_mul_f64_e32 v[10:11], v[38:39], v[28:29]
	v_mul_f64_e32 v[12:13], v[34:35], v[164:165]
	;; [unrolled: 1-line block ×4, first 2 shown]
	v_fma_f64 v[2:3], v[96:97], v[42:43], -v[2:3]
	v_fma_f64 v[6:7], v[96:97], v[40:41], v[6:7]
	v_fma_f64 v[10:11], v[36:37], v[30:31], -v[10:11]
	v_fma_f64 v[12:13], v[32:33], v[166:167], -v[12:13]
	v_fma_f64 v[14:15], v[36:37], v[28:29], v[14:15]
	v_fma_f64 v[16:17], v[32:33], v[164:165], v[16:17]
	v_add_f64_e32 v[26:27], v[0:1], v[2:3]
	v_add_f64_e32 v[24:25], v[4:5], v[6:7]
	v_add_f64_e64 v[28:29], v[4:5], -v[6:7]
	v_add_f64_e32 v[30:31], v[10:11], v[12:13]
	v_add_f64_e64 v[32:33], v[0:1], -v[2:3]
	v_add_f64_e32 v[34:35], v[14:15], v[16:17]
	v_add_f64_e32 v[38:39], v[22:23], v[10:11]
	;; [unrolled: 1-line block ×4, first 2 shown]
	v_fma_f64 v[26:27], v[26:27], -0.5, v[8:9]
	v_fma_f64 v[24:25], v[24:25], -0.5, v[18:19]
	v_add_f64_e64 v[8:9], v[10:11], -v[12:13]
	v_add_f64_e32 v[10:11], v[20:21], v[14:15]
	v_fma_f64 v[18:19], v[34:35], -0.5, v[20:21]
	v_add_f64_e32 v[12:13], v[38:39], v[12:13]
	v_add_f64_e32 v[34:35], v[0:1], v[2:3]
	;; [unrolled: 1-line block ×3, first 2 shown]
	v_fma_f64 v[36:37], v[28:29], s[2:3], v[26:27]
	s_wait_alu 0xfffe
	v_fma_f64 v[26:27], v[28:29], s[10:11], v[26:27]
	v_add_f64_e64 v[28:29], v[14:15], -v[16:17]
	v_fma_f64 v[14:15], v[30:31], -0.5, v[22:23]
	v_fma_f64 v[20:21], v[32:33], s[10:11], v[24:25]
	v_fma_f64 v[24:25], v[32:33], s[2:3], v[24:25]
	v_add_f64_e32 v[10:11], v[10:11], v[16:17]
	v_add_f64_e32 v[6:7], v[12:13], v[34:35]
	v_add_f64_e64 v[2:3], v[12:13], -v[34:35]
	v_mul_f64_e32 v[22:23], -0.5, v[36:37]
	v_mul_f64_e32 v[30:31], 0.5, v[26:27]
	v_mul_f64_e32 v[26:27], s[2:3], v[26:27]
	v_mul_f64_e32 v[32:33], s[2:3], v[36:37]
	v_fma_f64 v[16:17], v[28:29], s[2:3], v[14:15]
	v_fma_f64 v[28:29], v[28:29], s[10:11], v[14:15]
	;; [unrolled: 1-line block ×4, first 2 shown]
	v_add_f64_e64 v[0:1], v[10:11], -v[4:5]
	v_add_f64_e32 v[4:5], v[10:11], v[4:5]
	v_fma_f64 v[14:15], v[20:21], s[10:11], v[22:23]
	v_fma_f64 v[22:23], v[24:25], s[10:11], v[30:31]
	v_fma_f64 v[24:25], v[24:25], 0.5, v[26:27]
	v_fma_f64 v[26:27], v[20:21], -0.5, v[32:33]
	s_delay_alu instid0(VALU_DEP_4) | instskip(SKIP_1) | instid1(VALU_DEP_4)
	v_add_f64_e64 v[10:11], v[16:17], -v[14:15]
	v_add_f64_e32 v[14:15], v[16:17], v[14:15]
	v_add_f64_e32 v[16:17], v[8:9], v[24:25]
	v_add_f64_e64 v[20:21], v[8:9], -v[24:25]
	scratch_load_b32 v24, off, off offset:356 th:TH_LOAD_LU ; 4-byte Folded Reload
	v_add_f64_e32 v[18:19], v[28:29], v[22:23]
	v_add_f64_e32 v[12:13], v[36:37], v[26:27]
	v_add_f64_e64 v[22:23], v[28:29], -v[22:23]
	v_add_f64_e64 v[8:9], v[36:37], -v[26:27]
	s_wait_loadcnt 0x0
	v_lshlrev_b32_e32 v24, 4, v24
	ds_store_b128 v24, v[4:7] offset:19584
	ds_store_b128 v24, v[16:19] offset:20400
	;; [unrolled: 1-line block ×6, first 2 shown]
.LBB0_21:
	s_wait_alu 0xfffe
	s_or_b32 exec_lo, exec_lo, s1
	global_wb scope:SCOPE_SE
	s_wait_dscnt 0x0
	s_barrier_signal -1
	s_barrier_wait -1
	global_inv scope:SCOPE_SE
	ds_load_b128 v[0:3], v232 offset:4896
	ds_load_b128 v[4:7], v232 offset:9792
	;; [unrolled: 1-line block ×13, first 2 shown]
	scratch_load_b128 v[100:103], off, off offset:360 th:TH_LOAD_LU ; 16-byte Folded Reload
	s_mov_b32 s10, 0x134454ff
	s_mov_b32 s11, 0xbfee6f0e
	;; [unrolled: 1-line block ×3, first 2 shown]
	s_wait_alu 0xfffe
	s_mov_b32 s14, s10
	s_mov_b32 s0, 0x4755a5e
	s_mov_b32 s1, 0xbfe2cf23
	s_mov_b32 s3, 0x3fe2cf23
	s_wait_dscnt 0xb
	v_mul_f64_e32 v[56:57], v[106:107], v[6:7]
	v_mul_f64_e32 v[58:59], v[106:107], v[4:5]
	s_wait_dscnt 0xa
	v_mul_f64_e32 v[60:61], v[114:115], v[10:11]
	v_mul_f64_e32 v[62:63], v[114:115], v[8:9]
	s_wait_dscnt 0x9
	v_mul_f64_e32 v[64:65], v[118:119], v[14:15]
	v_mul_f64_e32 v[66:67], v[118:119], v[12:13]
	s_wait_dscnt 0x8
	v_mul_f64_e32 v[68:69], v[126:127], v[18:19]
	v_mul_f64_e32 v[70:71], v[126:127], v[16:17]
	s_wait_dscnt 0x7
	v_mul_f64_e32 v[72:73], v[122:123], v[22:23]
	s_wait_dscnt 0x6
	v_mul_f64_e32 v[76:77], v[134:135], v[26:27]
	;; [unrolled: 2-line block ×3, first 2 shown]
	v_mul_f64_e32 v[82:83], v[130:131], v[28:29]
	v_mul_f64_e32 v[74:75], v[122:123], v[20:21]
	;; [unrolled: 1-line block ×3, first 2 shown]
	s_wait_dscnt 0x2
	v_mul_f64_e32 v[88:89], v[138:139], v[42:43]
	v_mul_f64_e32 v[90:91], v[138:139], v[40:41]
	s_wait_dscnt 0x1
	v_mul_f64_e32 v[92:93], v[150:151], v[46:47]
	v_mul_f64_e32 v[94:95], v[150:151], v[44:45]
	;; [unrolled: 1-line block ×4, first 2 shown]
	s_wait_dscnt 0x0
	v_mul_f64_e32 v[96:97], v[146:147], v[50:51]
	v_mul_f64_e32 v[98:99], v[146:147], v[48:49]
	s_wait_alu 0xfffe
	s_mov_b32 s2, s0
	v_fma_f64 v[56:57], v[104:105], v[4:5], v[56:57]
	v_fma_f64 v[58:59], v[104:105], v[6:7], -v[58:59]
	v_fma_f64 v[8:9], v[112:113], v[8:9], v[60:61]
	v_fma_f64 v[10:11], v[112:113], v[10:11], -v[62:63]
	;; [unrolled: 2-line block ×4, first 2 shown]
	v_fma_f64 v[20:21], v[120:121], v[20:21], v[72:73]
	v_fma_f64 v[24:25], v[132:133], v[24:25], v[76:77]
	;; [unrolled: 1-line block ×3, first 2 shown]
	v_fma_f64 v[30:31], v[128:129], v[30:31], -v[82:83]
	v_fma_f64 v[22:23], v[120:121], v[22:23], -v[74:75]
	;; [unrolled: 1-line block ×3, first 2 shown]
	v_fma_f64 v[40:41], v[136:137], v[40:41], v[88:89]
	v_fma_f64 v[42:43], v[136:137], v[42:43], -v[90:91]
	v_fma_f64 v[44:45], v[148:149], v[44:45], v[92:93]
	v_fma_f64 v[46:47], v[148:149], v[46:47], -v[94:95]
	v_fma_f64 v[36:37], v[140:141], v[36:37], v[84:85]
	v_fma_f64 v[38:39], v[140:141], v[38:39], -v[86:87]
	v_fma_f64 v[48:49], v[144:145], v[48:49], v[96:97]
	v_fma_f64 v[50:51], v[144:145], v[50:51], -v[98:99]
	ds_load_b128 v[4:7], v232 offset:1632
	v_add_f64_e32 v[60:61], v[56:57], v[8:9]
	v_add_f64_e32 v[68:69], v[58:59], v[10:11]
	v_add_f64_e64 v[70:71], v[58:59], -v[10:11]
	v_add_f64_e64 v[78:79], v[12:13], -v[8:9]
	;; [unrolled: 1-line block ×5, first 2 shown]
	v_add_f64_e32 v[76:77], v[20:21], v[24:25]
	v_add_f64_e32 v[80:81], v[16:17], v[28:29]
	;; [unrolled: 1-line block ×3, first 2 shown]
	v_add_f64_e64 v[124:125], v[20:21], -v[24:25]
	v_add_f64_e32 v[86:87], v[22:23], v[26:27]
	v_add_f64_e64 v[112:113], v[22:23], -v[26:27]
	v_add_f64_e64 v[110:111], v[18:19], -v[30:31]
	v_add_f64_e32 v[92:93], v[40:41], v[44:45]
	v_add_f64_e32 v[94:95], v[42:43], v[46:47]
	;; [unrolled: 1-line block ×6, first 2 shown]
	v_add_f64_e64 v[114:115], v[16:17], -v[20:21]
	v_add_f64_e64 v[118:119], v[20:21], -v[16:17]
	v_add_f64_e64 v[132:133], v[38:39], -v[50:51]
	v_add_f64_e64 v[134:135], v[36:37], -v[48:49]
	v_add_f64_e64 v[136:137], v[40:41], -v[44:45]
	v_add_f64_e64 v[130:131], v[18:19], -v[22:23]
	v_add_f64_e64 v[116:117], v[28:29], -v[24:25]
	v_add_f64_e64 v[120:121], v[24:25], -v[28:29]
	v_add_f64_e64 v[138:139], v[38:39], -v[42:43]
	v_add_f64_e64 v[38:39], v[42:43], -v[38:39]
	v_add_f64_e64 v[142:143], v[46:47], -v[50:51]
	v_add_f64_e64 v[140:141], v[50:51], -v[46:47]
	s_wait_dscnt 0x0
	v_add_f64_e32 v[108:109], v[4:5], v[16:17]
	v_add_f64_e32 v[122:123], v[6:7], v[18:19]
	v_add_f64_e64 v[16:17], v[16:17], -v[28:29]
	v_add_f64_e64 v[18:19], v[22:23], -v[18:19]
	v_fma_f64 v[76:77], v[76:77], -0.5, v[4:5]
	v_fma_f64 v[4:5], v[80:81], -0.5, v[4:5]
	;; [unrolled: 1-line block ×3, first 2 shown]
	v_add_f64_e64 v[80:81], v[42:43], -v[46:47]
	v_fma_f64 v[6:7], v[86:87], -0.5, v[6:7]
	v_add_f64_e64 v[86:87], v[36:37], -v[40:41]
	v_add_f64_e64 v[36:37], v[40:41], -v[36:37]
	v_fma_f64 v[92:93], v[92:93], -0.5, v[32:33]
	v_fma_f64 v[94:95], v[94:95], -0.5, v[34:35]
	v_add_f64_e32 v[40:41], v[126:127], v[40:41]
	v_add_f64_e32 v[42:43], v[128:129], v[42:43]
	v_fma_f64 v[32:33], v[96:97], -0.5, v[32:33]
	v_fma_f64 v[34:35], v[98:99], -0.5, v[34:35]
	v_add_f64_e64 v[96:97], v[48:49], -v[44:45]
	v_add_f64_e64 v[98:99], v[44:45], -v[48:49]
	v_add_f64_e32 v[114:115], v[114:115], v[116:117]
	v_add_f64_e32 v[116:117], v[118:119], v[120:121]
	;; [unrolled: 1-line block ×5, first 2 shown]
	v_fma_f64 v[108:109], v[124:125], s[10:11], v[84:85]
	v_fma_f64 v[84:85], v[124:125], s[14:15], v[84:85]
	;; [unrolled: 1-line block ×12, first 2 shown]
	v_add_f64_e32 v[86:87], v[86:87], v[96:97]
	v_add_f64_e32 v[96:97], v[36:37], v[98:99]
	;; [unrolled: 1-line block ×3, first 2 shown]
	v_fma_f64 v[94:95], v[136:137], s[0:1], v[94:95]
	s_wait_loadcnt 0x0
	v_mul_f64_e32 v[52:53], v[102:103], v[2:3]
	v_mul_f64_e32 v[54:55], v[102:103], v[0:1]
	s_delay_alu instid0(VALU_DEP_2) | instskip(NEXT) | instid1(VALU_DEP_2)
	v_fma_f64 v[52:53], v[100:101], v[0:1], v[52:53]
	v_fma_f64 v[54:55], v[100:101], v[2:3], -v[54:55]
	ds_load_b128 v[0:3], v232
	v_add_f64_e64 v[100:101], v[56:57], -v[8:9]
	s_wait_dscnt 0x0
	v_fma_f64 v[60:61], v[60:61], -0.5, v[0:1]
	v_fma_f64 v[68:69], v[68:69], -0.5, v[2:3]
	v_add_f64_e32 v[64:65], v[52:53], v[12:13]
	v_add_f64_e32 v[72:73], v[54:55], v[14:15]
	;; [unrolled: 1-line block ×4, first 2 shown]
	v_add_f64_e64 v[74:75], v[52:53], -v[56:57]
	v_add_f64_e64 v[82:83], v[56:57], -v[52:53]
	;; [unrolled: 1-line block ×6, first 2 shown]
	v_fma_f64 v[0:1], v[64:65], -0.5, v[0:1]
	v_fma_f64 v[2:3], v[72:73], -0.5, v[2:3]
	v_add_f64_e32 v[56:57], v[62:63], v[56:57]
	v_add_f64_e32 v[58:59], v[90:91], v[58:59]
	v_add_f64_e64 v[72:73], v[26:27], -v[30:31]
	v_add_f64_e32 v[62:63], v[74:75], v[78:79]
	v_add_f64_e32 v[74:75], v[82:83], v[88:89]
	;; [unrolled: 1-line block ×3, first 2 shown]
	v_fma_f64 v[82:83], v[66:67], s[10:11], v[60:61]
	v_add_f64_e32 v[54:55], v[54:55], v[106:107]
	v_fma_f64 v[60:61], v[66:67], s[14:15], v[60:61]
	v_fma_f64 v[90:91], v[52:53], s[14:15], v[68:69]
	;; [unrolled: 1-line block ×4, first 2 shown]
	v_add_f64_e64 v[64:65], v[30:31], -v[26:27]
	v_fma_f64 v[104:105], v[110:111], s[10:11], v[76:77]
	v_fma_f64 v[76:77], v[110:111], s[14:15], v[76:77]
	;; [unrolled: 1-line block ×7, first 2 shown]
	v_add_f64_e32 v[8:9], v[56:57], v[8:9]
	v_add_f64_e32 v[10:11], v[58:59], v[10:11]
	;; [unrolled: 1-line block ×7, first 2 shown]
	s_wait_alu 0xfffe
	v_fma_f64 v[36:37], v[70:71], s[2:3], v[60:61]
	v_fma_f64 v[44:45], v[100:101], s[0:1], v[68:69]
	v_fma_f64 v[60:61], v[110:111], s[0:1], v[106:107]
	v_fma_f64 v[68:69], v[16:17], s[2:3], v[108:109]
	v_add_f64_e32 v[64:65], v[130:131], v[64:65]
	v_fma_f64 v[58:59], v[112:113], s[2:3], v[76:77]
	v_fma_f64 v[76:77], v[124:125], s[0:1], v[6:7]
	;; [unrolled: 1-line block ×19, first 2 shown]
	s_mov_b32 s0, 0x372fe950
	s_mov_b32 s1, 0x3fd3c6ef
	v_add_f64_e32 v[0:1], v[8:9], v[12:13]
	v_add_f64_e32 v[2:3], v[10:11], v[14:15]
	;; [unrolled: 1-line block ×5, first 2 shown]
	s_wait_alu 0xfffe
	v_fma_f64 v[16:17], v[62:63], s[0:1], v[36:37]
	v_fma_f64 v[36:37], v[116:117], s[0:1], v[60:61]
	v_fma_f64 v[18:19], v[78:79], s[0:1], v[44:45]
	v_fma_f64 v[32:33], v[114:115], s[0:1], v[58:59]
	v_fma_f64 v[34:35], v[64:65], s[0:1], v[76:77]
	v_fma_f64 v[12:13], v[62:63], s[0:1], v[26:27]
	v_fma_f64 v[14:15], v[78:79], s[0:1], v[42:43]
	v_add_f64_e32 v[10:11], v[24:25], v[50:51]
	v_fma_f64 v[28:29], v[114:115], s[0:1], v[56:57]
	v_fma_f64 v[30:31], v[64:65], s[0:1], v[70:71]
	;; [unrolled: 1-line block ×17, first 2 shown]
	ds_store_b128 v232, v[0:3]
	ds_store_b128 v232, v[4:7] offset:1632
	ds_store_b128 v232, v[20:23] offset:9792
	;; [unrolled: 1-line block ×14, first 2 shown]
	global_wb scope:SCOPE_SE
	s_wait_dscnt 0x0
	s_barrier_signal -1
	s_barrier_wait -1
	global_inv scope:SCOPE_SE
	s_and_b32 exec_lo, exec_lo, vcc_lo
	s_cbranch_execz .LBB0_23
; %bb.22:
	global_load_b128 v[0:3], v255, s[8:9]
	ds_load_b128 v[4:7], v232
	ds_load_b128 v[8:11], v255 offset:1440
	ds_load_b128 v[12:15], v255 offset:23040
	s_mov_b32 s0, 0x156ac015
	s_mov_b32 s1, 0x3f456ac0
	s_mul_u64 s[2:3], s[4:5], 0x5a0
	s_wait_loadcnt_dscnt 0x2
	v_mul_f64_e32 v[16:17], v[6:7], v[2:3]
	v_mul_f64_e32 v[2:3], v[4:5], v[2:3]
	s_delay_alu instid0(VALU_DEP_2) | instskip(NEXT) | instid1(VALU_DEP_2)
	v_fma_f64 v[4:5], v[4:5], v[0:1], v[16:17]
	v_fma_f64 v[2:3], v[0:1], v[6:7], -v[2:3]
	v_mad_co_u64_u32 v[6:7], null, s6, v245, 0
	v_mad_co_u64_u32 v[16:17], null, s4, v246, 0
	s_wait_alu 0xfffe
	s_delay_alu instid0(VALU_DEP_4) | instskip(NEXT) | instid1(VALU_DEP_4)
	v_mul_f64_e32 v[0:1], s[0:1], v[4:5]
	v_mul_f64_e32 v[2:3], s[0:1], v[2:3]
	s_delay_alu instid0(VALU_DEP_3) | instskip(NEXT) | instid1(VALU_DEP_1)
	v_dual_mov_b32 v4, v7 :: v_dual_mov_b32 v5, v17
	v_mad_co_u64_u32 v[17:18], null, s7, v245, v[4:5]
	v_mad_co_u64_u32 v[4:5], null, s5, v246, v[5:6]
	s_delay_alu instid0(VALU_DEP_2) | instskip(NEXT) | instid1(VALU_DEP_2)
	v_mov_b32_e32 v7, v17
	v_mov_b32_e32 v17, v4
	s_delay_alu instid0(VALU_DEP_2) | instskip(NEXT) | instid1(VALU_DEP_2)
	v_lshlrev_b64_e32 v[4:5], 4, v[6:7]
	v_lshlrev_b64_e32 v[6:7], 4, v[16:17]
	s_delay_alu instid0(VALU_DEP_2) | instskip(NEXT) | instid1(VALU_DEP_3)
	v_add_co_u32 v4, vcc_lo, s12, v4
	v_add_co_ci_u32_e32 v5, vcc_lo, s13, v5, vcc_lo
	s_delay_alu instid0(VALU_DEP_2) | instskip(SKIP_1) | instid1(VALU_DEP_2)
	v_add_co_u32 v4, vcc_lo, v4, v6
	s_wait_alu 0xfffd
	v_add_co_ci_u32_e32 v5, vcc_lo, v5, v7, vcc_lo
	s_delay_alu instid0(VALU_DEP_2)
	v_add_co_u32 v16, vcc_lo, v4, s2
	global_store_b128 v[4:5], v[0:3], off
	global_load_b128 v[0:3], v255, s[8:9] offset:1440
	s_wait_alu 0xfffd
	v_add_co_ci_u32_e32 v17, vcc_lo, s3, v5, vcc_lo
	s_wait_loadcnt_dscnt 0x1
	v_mul_f64_e32 v[6:7], v[10:11], v[2:3]
	v_mul_f64_e32 v[2:3], v[8:9], v[2:3]
	s_delay_alu instid0(VALU_DEP_2) | instskip(NEXT) | instid1(VALU_DEP_2)
	v_fma_f64 v[6:7], v[8:9], v[0:1], v[6:7]
	v_fma_f64 v[2:3], v[0:1], v[10:11], -v[2:3]
	s_delay_alu instid0(VALU_DEP_2) | instskip(NEXT) | instid1(VALU_DEP_2)
	v_mul_f64_e32 v[0:1], s[0:1], v[6:7]
	v_mul_f64_e32 v[2:3], s[0:1], v[2:3]
	global_store_b128 v[16:17], v[0:3], off
	global_load_b128 v[0:3], v255, s[8:9] offset:2880
	ds_load_b128 v[4:7], v255 offset:2880
	ds_load_b128 v[8:11], v255 offset:4320
	s_wait_loadcnt_dscnt 0x1
	v_mul_f64_e32 v[18:19], v[6:7], v[2:3]
	v_mul_f64_e32 v[2:3], v[4:5], v[2:3]
	s_delay_alu instid0(VALU_DEP_2) | instskip(NEXT) | instid1(VALU_DEP_2)
	v_fma_f64 v[4:5], v[4:5], v[0:1], v[18:19]
	v_fma_f64 v[2:3], v[0:1], v[6:7], -v[2:3]
	s_delay_alu instid0(VALU_DEP_2) | instskip(NEXT) | instid1(VALU_DEP_2)
	v_mul_f64_e32 v[0:1], s[0:1], v[4:5]
	v_mul_f64_e32 v[2:3], s[0:1], v[2:3]
	v_add_co_u32 v4, vcc_lo, v16, s2
	s_wait_alu 0xfffd
	v_add_co_ci_u32_e32 v5, vcc_lo, s3, v17, vcc_lo
	s_delay_alu instid0(VALU_DEP_2) | instskip(SKIP_1) | instid1(VALU_DEP_2)
	v_add_co_u32 v16, vcc_lo, v4, s2
	s_wait_alu 0xfffd
	v_add_co_ci_u32_e32 v17, vcc_lo, s3, v5, vcc_lo
	global_store_b128 v[4:5], v[0:3], off
	global_load_b128 v[0:3], v255, s[8:9] offset:4320
	s_wait_loadcnt_dscnt 0x0
	v_mul_f64_e32 v[6:7], v[10:11], v[2:3]
	v_mul_f64_e32 v[2:3], v[8:9], v[2:3]
	s_delay_alu instid0(VALU_DEP_2) | instskip(NEXT) | instid1(VALU_DEP_2)
	v_fma_f64 v[6:7], v[8:9], v[0:1], v[6:7]
	v_fma_f64 v[2:3], v[0:1], v[10:11], -v[2:3]
	s_delay_alu instid0(VALU_DEP_2) | instskip(NEXT) | instid1(VALU_DEP_2)
	v_mul_f64_e32 v[0:1], s[0:1], v[6:7]
	v_mul_f64_e32 v[2:3], s[0:1], v[2:3]
	global_store_b128 v[16:17], v[0:3], off
	global_load_b128 v[0:3], v255, s[8:9] offset:5760
	ds_load_b128 v[4:7], v255 offset:5760
	ds_load_b128 v[8:11], v255 offset:7200
	s_wait_loadcnt_dscnt 0x1
	v_mul_f64_e32 v[18:19], v[6:7], v[2:3]
	v_mul_f64_e32 v[2:3], v[4:5], v[2:3]
	s_delay_alu instid0(VALU_DEP_2) | instskip(NEXT) | instid1(VALU_DEP_2)
	v_fma_f64 v[4:5], v[4:5], v[0:1], v[18:19]
	v_fma_f64 v[2:3], v[0:1], v[6:7], -v[2:3]
	s_delay_alu instid0(VALU_DEP_2) | instskip(NEXT) | instid1(VALU_DEP_2)
	v_mul_f64_e32 v[0:1], s[0:1], v[4:5]
	v_mul_f64_e32 v[2:3], s[0:1], v[2:3]
	v_add_co_u32 v4, vcc_lo, v16, s2
	s_wait_alu 0xfffd
	v_add_co_ci_u32_e32 v5, vcc_lo, s3, v17, vcc_lo
	s_delay_alu instid0(VALU_DEP_2) | instskip(SKIP_1) | instid1(VALU_DEP_2)
	v_add_co_u32 v16, vcc_lo, v4, s2
	s_wait_alu 0xfffd
	v_add_co_ci_u32_e32 v17, vcc_lo, s3, v5, vcc_lo
	global_store_b128 v[4:5], v[0:3], off
	global_load_b128 v[0:3], v255, s[8:9] offset:7200
	;; [unrolled: 31-line block ×6, first 2 shown]
	s_wait_loadcnt_dscnt 0x0
	v_mul_f64_e32 v[6:7], v[10:11], v[2:3]
	v_mul_f64_e32 v[2:3], v[8:9], v[2:3]
	s_delay_alu instid0(VALU_DEP_2) | instskip(NEXT) | instid1(VALU_DEP_2)
	v_fma_f64 v[6:7], v[8:9], v[0:1], v[6:7]
	v_fma_f64 v[2:3], v[0:1], v[10:11], -v[2:3]
	s_delay_alu instid0(VALU_DEP_2) | instskip(NEXT) | instid1(VALU_DEP_2)
	v_mul_f64_e32 v[0:1], s[0:1], v[6:7]
	v_mul_f64_e32 v[2:3], s[0:1], v[2:3]
	global_store_b128 v[16:17], v[0:3], off
	global_load_b128 v[0:3], v255, s[8:9] offset:20160
	ds_load_b128 v[4:7], v255 offset:20160
	ds_load_b128 v[8:11], v255 offset:21600
	s_wait_loadcnt_dscnt 0x1
	v_mul_f64_e32 v[18:19], v[6:7], v[2:3]
	v_mul_f64_e32 v[2:3], v[4:5], v[2:3]
	s_delay_alu instid0(VALU_DEP_2) | instskip(NEXT) | instid1(VALU_DEP_2)
	v_fma_f64 v[4:5], v[4:5], v[0:1], v[18:19]
	v_fma_f64 v[2:3], v[0:1], v[6:7], -v[2:3]
	s_delay_alu instid0(VALU_DEP_2) | instskip(NEXT) | instid1(VALU_DEP_2)
	v_mul_f64_e32 v[0:1], s[0:1], v[4:5]
	v_mul_f64_e32 v[2:3], s[0:1], v[2:3]
	v_add_co_u32 v4, vcc_lo, v16, s2
	s_wait_alu 0xfffd
	v_add_co_ci_u32_e32 v5, vcc_lo, s3, v17, vcc_lo
	global_store_b128 v[4:5], v[0:3], off
	global_load_b128 v[0:3], v255, s[8:9] offset:21600
	v_add_co_u32 v4, vcc_lo, v4, s2
	s_wait_alu 0xfffd
	v_add_co_ci_u32_e32 v5, vcc_lo, s3, v5, vcc_lo
	s_wait_loadcnt_dscnt 0x0
	v_mul_f64_e32 v[6:7], v[10:11], v[2:3]
	v_mul_f64_e32 v[2:3], v[8:9], v[2:3]
	s_delay_alu instid0(VALU_DEP_2) | instskip(NEXT) | instid1(VALU_DEP_2)
	v_fma_f64 v[6:7], v[8:9], v[0:1], v[6:7]
	v_fma_f64 v[2:3], v[0:1], v[10:11], -v[2:3]
	s_delay_alu instid0(VALU_DEP_2) | instskip(NEXT) | instid1(VALU_DEP_2)
	v_mul_f64_e32 v[0:1], s[0:1], v[6:7]
	v_mul_f64_e32 v[2:3], s[0:1], v[2:3]
	global_store_b128 v[4:5], v[0:3], off
	global_load_b128 v[0:3], v255, s[8:9] offset:23040
	v_add_co_u32 v4, vcc_lo, v4, s2
	s_wait_alu 0xfffd
	v_add_co_ci_u32_e32 v5, vcc_lo, s3, v5, vcc_lo
	s_wait_loadcnt 0x0
	v_mul_f64_e32 v[6:7], v[14:15], v[2:3]
	v_mul_f64_e32 v[2:3], v[12:13], v[2:3]
	s_delay_alu instid0(VALU_DEP_2) | instskip(NEXT) | instid1(VALU_DEP_2)
	v_fma_f64 v[6:7], v[12:13], v[0:1], v[6:7]
	v_fma_f64 v[2:3], v[0:1], v[14:15], -v[2:3]
	s_delay_alu instid0(VALU_DEP_2) | instskip(NEXT) | instid1(VALU_DEP_2)
	v_mul_f64_e32 v[0:1], s[0:1], v[6:7]
	v_mul_f64_e32 v[2:3], s[0:1], v[2:3]
	global_store_b128 v[4:5], v[0:3], off
.LBB0_23:
	s_nop 0
	s_sendmsg sendmsg(MSG_DEALLOC_VGPRS)
	s_endpgm
	.section	.rodata,"a",@progbits
	.p2align	6, 0x0
	.amdhsa_kernel bluestein_single_fwd_len1530_dim1_dp_op_CI_CI
		.amdhsa_group_segment_fixed_size 24480
		.amdhsa_private_segment_fixed_size 516
		.amdhsa_kernarg_size 104
		.amdhsa_user_sgpr_count 2
		.amdhsa_user_sgpr_dispatch_ptr 0
		.amdhsa_user_sgpr_queue_ptr 0
		.amdhsa_user_sgpr_kernarg_segment_ptr 1
		.amdhsa_user_sgpr_dispatch_id 0
		.amdhsa_user_sgpr_private_segment_size 0
		.amdhsa_wavefront_size32 1
		.amdhsa_uses_dynamic_stack 0
		.amdhsa_enable_private_segment 1
		.amdhsa_system_sgpr_workgroup_id_x 1
		.amdhsa_system_sgpr_workgroup_id_y 0
		.amdhsa_system_sgpr_workgroup_id_z 0
		.amdhsa_system_sgpr_workgroup_info 0
		.amdhsa_system_vgpr_workitem_id 0
		.amdhsa_next_free_vgpr 256
		.amdhsa_next_free_sgpr 58
		.amdhsa_reserve_vcc 1
		.amdhsa_float_round_mode_32 0
		.amdhsa_float_round_mode_16_64 0
		.amdhsa_float_denorm_mode_32 3
		.amdhsa_float_denorm_mode_16_64 3
		.amdhsa_fp16_overflow 0
		.amdhsa_workgroup_processor_mode 1
		.amdhsa_memory_ordered 1
		.amdhsa_forward_progress 0
		.amdhsa_round_robin_scheduling 0
		.amdhsa_exception_fp_ieee_invalid_op 0
		.amdhsa_exception_fp_denorm_src 0
		.amdhsa_exception_fp_ieee_div_zero 0
		.amdhsa_exception_fp_ieee_overflow 0
		.amdhsa_exception_fp_ieee_underflow 0
		.amdhsa_exception_fp_ieee_inexact 0
		.amdhsa_exception_int_div_zero 0
	.end_amdhsa_kernel
	.text
.Lfunc_end0:
	.size	bluestein_single_fwd_len1530_dim1_dp_op_CI_CI, .Lfunc_end0-bluestein_single_fwd_len1530_dim1_dp_op_CI_CI
                                        ; -- End function
	.section	.AMDGPU.csdata,"",@progbits
; Kernel info:
; codeLenInByte = 26980
; NumSgprs: 60
; NumVgprs: 256
; ScratchSize: 516
; MemoryBound: 0
; FloatMode: 240
; IeeeMode: 1
; LDSByteSize: 24480 bytes/workgroup (compile time only)
; SGPRBlocks: 7
; VGPRBlocks: 31
; NumSGPRsForWavesPerEU: 60
; NumVGPRsForWavesPerEU: 256
; Occupancy: 5
; WaveLimiterHint : 1
; COMPUTE_PGM_RSRC2:SCRATCH_EN: 1
; COMPUTE_PGM_RSRC2:USER_SGPR: 2
; COMPUTE_PGM_RSRC2:TRAP_HANDLER: 0
; COMPUTE_PGM_RSRC2:TGID_X_EN: 1
; COMPUTE_PGM_RSRC2:TGID_Y_EN: 0
; COMPUTE_PGM_RSRC2:TGID_Z_EN: 0
; COMPUTE_PGM_RSRC2:TIDIG_COMP_CNT: 0
	.text
	.p2alignl 7, 3214868480
	.fill 96, 4, 3214868480
	.type	__hip_cuid_54af50f3104e7e6d,@object ; @__hip_cuid_54af50f3104e7e6d
	.section	.bss,"aw",@nobits
	.globl	__hip_cuid_54af50f3104e7e6d
__hip_cuid_54af50f3104e7e6d:
	.byte	0                               ; 0x0
	.size	__hip_cuid_54af50f3104e7e6d, 1

	.ident	"AMD clang version 19.0.0git (https://github.com/RadeonOpenCompute/llvm-project roc-6.4.0 25133 c7fe45cf4b819c5991fe208aaa96edf142730f1d)"
	.section	".note.GNU-stack","",@progbits
	.addrsig
	.addrsig_sym __hip_cuid_54af50f3104e7e6d
	.amdgpu_metadata
---
amdhsa.kernels:
  - .args:
      - .actual_access:  read_only
        .address_space:  global
        .offset:         0
        .size:           8
        .value_kind:     global_buffer
      - .actual_access:  read_only
        .address_space:  global
        .offset:         8
        .size:           8
        .value_kind:     global_buffer
      - .actual_access:  read_only
        .address_space:  global
        .offset:         16
        .size:           8
        .value_kind:     global_buffer
      - .actual_access:  read_only
        .address_space:  global
        .offset:         24
        .size:           8
        .value_kind:     global_buffer
      - .actual_access:  read_only
        .address_space:  global
        .offset:         32
        .size:           8
        .value_kind:     global_buffer
      - .offset:         40
        .size:           8
        .value_kind:     by_value
      - .address_space:  global
        .offset:         48
        .size:           8
        .value_kind:     global_buffer
      - .address_space:  global
        .offset:         56
        .size:           8
        .value_kind:     global_buffer
      - .address_space:  global
        .offset:         64
        .size:           8
        .value_kind:     global_buffer
      - .address_space:  global
        .offset:         72
        .size:           8
        .value_kind:     global_buffer
      - .offset:         80
        .size:           4
        .value_kind:     by_value
      - .address_space:  global
        .offset:         88
        .size:           8
        .value_kind:     global_buffer
      - .address_space:  global
        .offset:         96
        .size:           8
        .value_kind:     global_buffer
    .group_segment_fixed_size: 24480
    .kernarg_segment_align: 8
    .kernarg_segment_size: 104
    .language:       OpenCL C
    .language_version:
      - 2
      - 0
    .max_flat_workgroup_size: 102
    .name:           bluestein_single_fwd_len1530_dim1_dp_op_CI_CI
    .private_segment_fixed_size: 516
    .sgpr_count:     60
    .sgpr_spill_count: 0
    .symbol:         bluestein_single_fwd_len1530_dim1_dp_op_CI_CI.kd
    .uniform_work_group_size: 1
    .uses_dynamic_stack: false
    .vgpr_count:     256
    .vgpr_spill_count: 136
    .wavefront_size: 32
    .workgroup_processor_mode: 1
amdhsa.target:   amdgcn-amd-amdhsa--gfx1201
amdhsa.version:
  - 1
  - 2
...

	.end_amdgpu_metadata
